;; amdgpu-corpus repo=ROCm/rocFFT kind=compiled arch=gfx906 opt=O3
	.text
	.amdgcn_target "amdgcn-amd-amdhsa--gfx906"
	.amdhsa_code_object_version 6
	.protected	bluestein_single_back_len1875_dim1_sp_op_CI_CI ; -- Begin function bluestein_single_back_len1875_dim1_sp_op_CI_CI
	.globl	bluestein_single_back_len1875_dim1_sp_op_CI_CI
	.p2align	8
	.type	bluestein_single_back_len1875_dim1_sp_op_CI_CI,@function
bluestein_single_back_len1875_dim1_sp_op_CI_CI: ; @bluestein_single_back_len1875_dim1_sp_op_CI_CI
; %bb.0:
	s_load_dwordx4 s[16:19], s[4:5], 0x28
	v_mul_u32_u24_e32 v1, 0x20d, v0
	v_lshrrev_b32_e32 v1, 16, v1
	v_lshl_add_u32 v104, s6, 1, v1
	v_mov_b32_e32 v105, 0
	s_waitcnt lgkmcnt(0)
	v_cmp_gt_u64_e32 vcc, s[16:17], v[104:105]
	s_and_saveexec_b64 s[0:1], vcc
	s_cbranch_execz .LBB0_2
; %bb.1:
	s_load_dwordx4 s[0:3], s[4:5], 0x18
	s_load_dwordx4 s[8:11], s[4:5], 0x0
	v_mul_lo_u16_e32 v2, 0x7d, v1
	v_sub_u16_e32 v119, v0, v2
	v_and_b32_e32 v32, 1, v1
	s_waitcnt lgkmcnt(0)
	s_load_dwordx4 s[12:15], s[0:1], 0x0
	v_lshlrev_b32_e32 v33, 3, v119
	s_movk_i32 s6, 0x1000
	global_load_dwordx2 v[111:112], v33, s[8:9] offset:3000
	s_movk_i32 s7, 0x2000
	s_waitcnt lgkmcnt(0)
	v_mad_u64_u32 v[2:3], s[0:1], s14, v104, 0
	v_mad_u64_u32 v[4:5], s[0:1], s12, v119, 0
	v_mov_b32_e32 v0, v3
	v_mov_b32_e32 v117, 0xffffd508
	;; [unrolled: 1-line block ×3, first 2 shown]
	v_mad_u64_u32 v[5:6], s[0:1], s15, v104, v[0:1]
	v_mad_u64_u32 v[6:7], s[0:1], s13, v119, v[3:4]
	v_mov_b32_e32 v3, v5
	v_lshlrev_b64 v[0:1], 3, v[2:3]
	v_mov_b32_e32 v7, s19
	v_mov_b32_e32 v5, v6
	v_add_co_u32_e32 v2, vcc, s18, v0
	v_addc_co_u32_e32 v3, vcc, v7, v1, vcc
	v_lshlrev_b64 v[0:1], 3, v[4:5]
	v_mov_b32_e32 v4, s9
	v_add_co_u32_e32 v0, vcc, v2, v0
	v_addc_co_u32_e32 v1, vcc, v3, v1, vcc
	v_add_co_u32_e32 v131, vcc, s8, v33
	s_mul_i32 s0, s13, 0xbb8
	s_mul_hi_u32 s1, s12, 0xbb8
	v_addc_co_u32_e32 v132, vcc, 0, v4, vcc
	s_add_i32 s0, s1, s0
	s_mul_i32 s1, s12, 0xbb8
	global_load_dwordx2 v[2:3], v[0:1], off
	v_mov_b32_e32 v4, s0
	v_add_co_u32_e32 v0, vcc, s1, v0
	v_addc_co_u32_e32 v1, vcc, v1, v4, vcc
	v_mov_b32_e32 v5, s0
	v_add_co_u32_e32 v4, vcc, s1, v0
	v_addc_co_u32_e32 v5, vcc, v1, v5, vcc
	global_load_dwordx2 v[6:7], v[0:1], off
	global_load_dwordx2 v[8:9], v[4:5], off
	v_add_co_u32_e32 v0, vcc, s6, v131
	v_addc_co_u32_e32 v1, vcc, 0, v132, vcc
	v_mov_b32_e32 v10, s0
	v_add_co_u32_e32 v4, vcc, s1, v4
	v_addc_co_u32_e32 v5, vcc, v5, v10, vcc
	v_add_co_u32_e32 v12, vcc, s7, v131
	v_addc_co_u32_e32 v13, vcc, 0, v132, vcc
	global_load_dwordx2 v[10:11], v[4:5], off
	v_mov_b32_e32 v14, s0
	v_add_co_u32_e32 v4, vcc, s1, v4
	v_addc_co_u32_e32 v5, vcc, v5, v14, vcc
	global_load_dwordx2 v[14:15], v[4:5], off
	v_mad_u64_u32 v[4:5], s[14:15], s12, v117, v[4:5]
	s_mul_i32 s7, s13, 0xffffd508
	s_sub_i32 s7, s7, s12
	v_add_u32_e32 v5, s7, v5
	global_load_dwordx2 v[109:110], v[0:1], off offset:1904
	global_load_dwordx2 v[105:106], v[12:13], off offset:808
	;; [unrolled: 1-line block ×3, first 2 shown]
	global_load_dwordx2 v[113:114], v33, s[8:9]
	global_load_dwordx2 v[16:17], v[4:5], off
	global_load_dwordx2 v[102:103], v33, s[8:9] offset:1000
	v_mov_b32_e32 v18, s0
	v_add_co_u32_e32 v4, vcc, s1, v4
	v_addc_co_u32_e32 v5, vcc, v5, v18, vcc
	global_load_dwordx2 v[18:19], v[4:5], off
	global_load_dwordx2 v[100:101], v33, s[8:9] offset:4000
	v_mov_b32_e32 v20, s0
	v_add_co_u32_e32 v4, vcc, s1, v4
	v_addc_co_u32_e32 v5, vcc, v5, v20, vcc
	global_load_dwordx2 v[20:21], v[4:5], off
	global_load_dwordx2 v[98:99], v[0:1], off offset:2904
	v_mov_b32_e32 v22, s0
	v_add_co_u32_e32 v4, vcc, s1, v4
	v_addc_co_u32_e32 v5, vcc, v5, v22, vcc
	global_load_dwordx2 v[22:23], v[4:5], off
	global_load_dwordx2 v[94:95], v[12:13], off offset:1808
	v_mov_b32_e32 v24, s0
	v_add_co_u32_e32 v4, vcc, s1, v4
	v_addc_co_u32_e32 v5, vcc, v5, v24, vcc
	global_load_dwordx2 v[24:25], v[4:5], off
	v_mad_u64_u32 v[4:5], s[12:13], s12, v117, v[4:5]
	s_movk_i32 s14, 0x3000
	v_add_co_u32_e32 v115, vcc, s14, v131
	v_addc_co_u32_e32 v116, vcc, 0, v132, vcc
	v_add_u32_e32 v5, s7, v5
	global_load_dwordx2 v[96:97], v[115:116], off offset:712
	global_load_dwordx2 v[26:27], v[4:5], off
	global_load_dwordx2 v[90:91], v33, s[8:9] offset:2000
	v_mov_b32_e32 v28, s0
	v_add_co_u32_e32 v4, vcc, s1, v4
	v_addc_co_u32_e32 v5, vcc, v5, v28, vcc
	global_load_dwordx2 v[28:29], v[4:5], off
	global_load_dwordx2 v[88:89], v[0:1], off offset:3904
	global_load_dwordx2 v[92:93], v[0:1], off offset:904
	v_mov_b32_e32 v1, s0
	v_add_co_u32_e32 v0, vcc, s1, v4
	v_addc_co_u32_e32 v1, vcc, v5, v1, vcc
	global_load_dwordx2 v[4:5], v[0:1], off
	v_mov_b32_e32 v30, s0
	v_add_co_u32_e32 v0, vcc, s1, v0
	v_addc_co_u32_e32 v1, vcc, v1, v30, vcc
	global_load_dwordx2 v[30:31], v[0:1], off
	global_load_dwordx2 v[86:87], v[12:13], off offset:2808
	v_mov_b32_e32 v12, s0
	v_add_co_u32_e32 v0, vcc, s1, v0
	v_addc_co_u32_e32 v1, vcc, v1, v12, vcc
	global_load_dwordx2 v[12:13], v[0:1], off
	global_load_dwordx2 v[84:85], v[115:116], off offset:1712
	v_mov_b32_e32 v0, 0x3a98
	v_cmp_eq_u32_e32 vcc, 1, v32
	v_cndmask_b32_e32 v57, 0, v0, vcc
	v_add_u32_e32 v118, v57, v33
	v_add_u32_e32 v121, 0xc00, v118
	;; [unrolled: 1-line block ×5, first 2 shown]
	s_load_dwordx4 s[0:3], s[2:3], 0x0
	v_add_u32_e32 v125, 0x400, v118
	v_add_u32_e32 v122, 0x2c00, v118
	s_movk_i32 s7, 0x7d
	v_add_co_u32_e32 v56, vcc, s7, v119
	s_movk_i32 s8, 0xfa
	v_add_co_u32_e32 v64, vcc, s8, v119
	s_movk_i32 s8, 0xcd
	v_mov_b32_e32 v80, s11
	s_load_dwordx2 s[4:5], s[4:5], 0x38
	s_waitcnt vmcnt(20)
	v_mul_f32_e32 v0, v3, v114
	v_mul_f32_e32 v1, v2, v114
	v_fmac_f32_e32 v0, v2, v113
	v_fma_f32 v1, v3, v113, -v1
	v_mul_f32_e32 v2, v7, v112
	v_mul_f32_e32 v3, v6, v112
	v_fmac_f32_e32 v2, v6, v111
	v_fma_f32 v3, v7, v111, -v3
	ds_write_b64 v118, v[2:3] offset:3000
	v_mul_f32_e32 v2, v9, v110
	v_mul_f32_e32 v3, v8, v110
	v_fmac_f32_e32 v2, v8, v109
	v_fma_f32 v3, v9, v109, -v3
	ds_write_b64 v118, v[2:3] offset:6000
	v_mul_f32_e32 v2, v11, v106
	v_mul_f32_e32 v3, v10, v106
	v_fmac_f32_e32 v2, v10, v105
	v_fma_f32 v3, v11, v105, -v3
	ds_write_b64 v118, v[2:3] offset:9000
	v_mul_f32_e32 v2, v15, v108
	v_mul_f32_e32 v3, v14, v108
	v_fmac_f32_e32 v2, v14, v107
	v_fma_f32 v3, v15, v107, -v3
	ds_write_b64 v118, v[2:3] offset:12000
	s_waitcnt vmcnt(18)
	v_mul_f32_e32 v2, v17, v103
	v_mul_f32_e32 v3, v16, v103
	v_fmac_f32_e32 v2, v16, v102
	v_fma_f32 v3, v17, v102, -v3
	ds_write2_b64 v118, v[0:1], v[2:3] offset1:125
	s_waitcnt vmcnt(16)
	v_mul_f32_e32 v0, v19, v101
	v_mul_f32_e32 v1, v18, v101
	v_fmac_f32_e32 v0, v18, v100
	v_fma_f32 v1, v19, v100, -v1
	s_waitcnt vmcnt(14)
	v_mul_f32_e32 v2, v21, v99
	v_mul_f32_e32 v3, v20, v99
	s_waitcnt vmcnt(8)
	v_mul_f32_e32 v10, v27, v91
	v_mul_f32_e32 v11, v26, v91
	v_fmac_f32_e32 v10, v26, v90
	v_fma_f32 v11, v27, v90, -v11
	ds_write_b64 v118, v[10:11] offset:2000
	v_fmac_f32_e32 v2, v20, v98
	s_waitcnt vmcnt(5)
	v_mul_f32_e32 v10, v29, v93
	v_mul_f32_e32 v11, v28, v93
	v_fmac_f32_e32 v10, v28, v92
	v_fma_f32 v11, v29, v92, -v11
	ds_write2_b64 v121, v[0:1], v[10:11] offset0:116 offset1:241
	v_fma_f32 v3, v21, v98, -v3
	s_waitcnt vmcnt(4)
	v_mul_f32_e32 v0, v5, v89
	v_mul_f32_e32 v1, v4, v89
	v_fmac_f32_e32 v0, v4, v88
	v_fma_f32 v1, v5, v88, -v1
	v_add_u32_e32 v4, 0x1800, v118
	v_mul_f32_e32 v6, v23, v95
	v_mul_f32_e32 v7, v22, v95
	ds_write2_b64 v4, v[2:3], v[0:1] offset0:107 offset1:232
	s_waitcnt vmcnt(2)
	v_mul_f32_e32 v0, v31, v87
	v_mul_f32_e32 v1, v30, v87
	v_fmac_f32_e32 v6, v22, v94
	v_fma_f32 v7, v23, v94, -v7
	v_fmac_f32_e32 v0, v30, v86
	v_fma_f32 v1, v31, v86, -v1
	v_mul_f32_e32 v8, v25, v97
	v_mul_f32_e32 v9, v24, v97
	ds_write2_b64 v120, v[6:7], v[0:1] offset0:98 offset1:223
	s_waitcnt vmcnt(0)
	v_mul_f32_e32 v0, v13, v85
	v_mul_f32_e32 v1, v12, v85
	v_fmac_f32_e32 v8, v24, v96
	v_fma_f32 v9, v25, v96, -v9
	v_fmac_f32_e32 v0, v12, v84
	v_fma_f32 v1, v13, v84, -v1
	v_add_u32_e32 v2, 0x3000, v118
	ds_write2_b64 v2, v[8:9], v[0:1] offset0:89 offset1:214
	s_waitcnt lgkmcnt(0)
	s_barrier
	ds_read2_b64 v[8:11], v124 offset0:110 offset1:235
	ds_read2_b64 v[12:15], v123 offset0:104 offset1:229
	ds_read2_b64 v[0:3], v118 offset1:125
	ds_read2_b64 v[4:7], v125 offset0:122 offset1:247
	ds_read2_b64 v[16:19], v122 offset0:92 offset1:217
	;; [unrolled: 1-line block ×4, first 2 shown]
	ds_read_b64 v[28:29], v118 offset:14000
	s_waitcnt lgkmcnt(0)
	v_add_f32_e32 v31, v8, v14
	v_fma_f32 v32, -0.5, v31, v0
	v_sub_f32_e32 v31, v7, v17
	v_mov_b32_e32 v34, v32
	v_fmac_f32_e32 v34, 0x3f737871, v31
	v_sub_f32_e32 v33, v9, v15
	v_sub_f32_e32 v35, v6, v8
	;; [unrolled: 1-line block ×3, first 2 shown]
	v_fmac_f32_e32 v32, 0xbf737871, v31
	v_fmac_f32_e32 v34, 0x3f167918, v33
	v_add_f32_e32 v35, v35, v36
	v_fmac_f32_e32 v32, 0xbf167918, v33
	v_fmac_f32_e32 v34, 0x3e9e377a, v35
	v_fmac_f32_e32 v32, 0x3e9e377a, v35
	v_add_f32_e32 v35, v6, v16
	v_add_f32_e32 v30, v0, v6
	v_fma_f32 v0, -0.5, v35, v0
	v_mov_b32_e32 v36, v0
	v_fmac_f32_e32 v36, 0xbf737871, v33
	v_sub_f32_e32 v35, v8, v6
	v_sub_f32_e32 v37, v14, v16
	v_fmac_f32_e32 v0, 0x3f737871, v33
	v_add_f32_e32 v33, v9, v15
	v_add_f32_e32 v30, v30, v8
	v_fmac_f32_e32 v36, 0x3f167918, v31
	v_add_f32_e32 v35, v35, v37
	v_fmac_f32_e32 v0, 0xbf167918, v31
	v_fma_f32 v33, -0.5, v33, v1
	v_add_f32_e32 v30, v30, v14
	v_fmac_f32_e32 v36, 0x3e9e377a, v35
	v_fmac_f32_e32 v0, 0x3e9e377a, v35
	v_sub_f32_e32 v6, v6, v16
	v_mov_b32_e32 v35, v33
	v_add_f32_e32 v30, v30, v16
	v_fmac_f32_e32 v35, 0xbf737871, v6
	v_sub_f32_e32 v8, v8, v14
	v_sub_f32_e32 v14, v7, v9
	;; [unrolled: 1-line block ×3, first 2 shown]
	v_fmac_f32_e32 v33, 0x3f737871, v6
	v_fmac_f32_e32 v35, 0xbf167918, v8
	v_add_f32_e32 v14, v14, v16
	v_fmac_f32_e32 v33, 0x3f167918, v8
	v_fmac_f32_e32 v35, 0x3e9e377a, v14
	v_fmac_f32_e32 v33, 0x3e9e377a, v14
	v_add_f32_e32 v14, v7, v17
	v_add_f32_e32 v31, v1, v7
	v_fma_f32 v1, -0.5, v14, v1
	v_mov_b32_e32 v37, v1
	v_add_f32_e32 v31, v31, v9
	v_fmac_f32_e32 v37, 0x3f737871, v8
	v_sub_f32_e32 v7, v9, v7
	v_sub_f32_e32 v9, v15, v17
	v_fmac_f32_e32 v1, 0xbf737871, v8
	v_fmac_f32_e32 v37, 0xbf167918, v6
	v_add_f32_e32 v7, v7, v9
	v_fmac_f32_e32 v1, 0x3f167918, v6
	v_fmac_f32_e32 v37, 0x3e9e377a, v7
	;; [unrolled: 1-line block ×3, first 2 shown]
	v_add_f32_e32 v7, v10, v24
	v_fma_f32 v8, -0.5, v7, v2
	v_sub_f32_e32 v7, v21, v19
	v_mov_b32_e32 v14, v8
	v_add_f32_e32 v31, v31, v15
	v_fmac_f32_e32 v14, 0x3f737871, v7
	v_sub_f32_e32 v9, v11, v25
	v_sub_f32_e32 v15, v20, v10
	;; [unrolled: 1-line block ×3, first 2 shown]
	v_fmac_f32_e32 v8, 0xbf737871, v7
	v_fmac_f32_e32 v14, 0x3f167918, v9
	v_add_f32_e32 v15, v15, v16
	v_fmac_f32_e32 v8, 0xbf167918, v9
	v_fmac_f32_e32 v14, 0x3e9e377a, v15
	;; [unrolled: 1-line block ×3, first 2 shown]
	v_add_f32_e32 v15, v20, v18
	v_add_f32_e32 v6, v2, v20
	v_fma_f32 v2, -0.5, v15, v2
	v_mov_b32_e32 v16, v2
	v_add_f32_e32 v31, v31, v17
	v_add_f32_e32 v6, v6, v10
	v_fmac_f32_e32 v16, 0xbf737871, v9
	v_sub_f32_e32 v15, v10, v20
	v_sub_f32_e32 v17, v24, v18
	v_fmac_f32_e32 v2, 0x3f737871, v9
	v_add_f32_e32 v9, v11, v25
	v_add_f32_e32 v6, v6, v24
	v_fmac_f32_e32 v16, 0x3f167918, v7
	v_add_f32_e32 v15, v15, v17
	v_fmac_f32_e32 v2, 0xbf167918, v7
	v_fma_f32 v9, -0.5, v9, v3
	v_add_f32_e32 v6, v6, v18
	v_fmac_f32_e32 v16, 0x3e9e377a, v15
	v_fmac_f32_e32 v2, 0x3e9e377a, v15
	v_sub_f32_e32 v18, v20, v18
	v_mov_b32_e32 v15, v9
	v_fmac_f32_e32 v15, 0xbf737871, v18
	v_sub_f32_e32 v10, v10, v24
	v_sub_f32_e32 v17, v21, v11
	;; [unrolled: 1-line block ×3, first 2 shown]
	v_fmac_f32_e32 v9, 0x3f737871, v18
	v_fmac_f32_e32 v15, 0xbf167918, v10
	v_add_f32_e32 v17, v17, v20
	v_fmac_f32_e32 v9, 0x3f167918, v10
	v_add_f32_e32 v7, v3, v21
	v_fmac_f32_e32 v15, 0x3e9e377a, v17
	v_fmac_f32_e32 v9, 0x3e9e377a, v17
	v_add_f32_e32 v17, v21, v19
	v_add_f32_e32 v7, v7, v11
	v_fmac_f32_e32 v3, -0.5, v17
	v_add_f32_e32 v7, v7, v25
	v_mov_b32_e32 v17, v3
	v_add_f32_e32 v7, v7, v19
	v_fmac_f32_e32 v17, 0x3f737871, v10
	v_sub_f32_e32 v11, v11, v21
	v_sub_f32_e32 v19, v25, v19
	v_fmac_f32_e32 v3, 0xbf737871, v10
	v_fmac_f32_e32 v17, 0xbf167918, v18
	v_add_f32_e32 v11, v11, v19
	v_fmac_f32_e32 v3, 0x3f167918, v18
	v_fmac_f32_e32 v17, 0x3e9e377a, v11
	;; [unrolled: 1-line block ×3, first 2 shown]
	v_add_f32_e32 v11, v12, v26
	v_fma_f32 v18, -0.5, v11, v4
	v_sub_f32_e32 v11, v23, v29
	v_mov_b32_e32 v20, v18
	v_fmac_f32_e32 v20, 0x3f737871, v11
	v_sub_f32_e32 v19, v13, v27
	v_sub_f32_e32 v21, v22, v12
	;; [unrolled: 1-line block ×3, first 2 shown]
	v_fmac_f32_e32 v18, 0xbf737871, v11
	v_fmac_f32_e32 v20, 0x3f167918, v19
	v_add_f32_e32 v21, v21, v24
	v_fmac_f32_e32 v18, 0xbf167918, v19
	v_fmac_f32_e32 v20, 0x3e9e377a, v21
	;; [unrolled: 1-line block ×3, first 2 shown]
	v_add_f32_e32 v21, v22, v28
	v_add_f32_e32 v10, v4, v22
	v_fma_f32 v4, -0.5, v21, v4
	v_mov_b32_e32 v24, v4
	v_fmac_f32_e32 v24, 0xbf737871, v19
	v_sub_f32_e32 v21, v12, v22
	v_sub_f32_e32 v25, v26, v28
	v_fmac_f32_e32 v4, 0x3f737871, v19
	v_add_f32_e32 v19, v13, v27
	v_fmac_f32_e32 v24, 0x3f167918, v11
	v_add_f32_e32 v21, v21, v25
	v_fmac_f32_e32 v4, 0xbf167918, v11
	v_fma_f32 v19, -0.5, v19, v5
	v_add_f32_e32 v10, v10, v12
	v_fmac_f32_e32 v24, 0x3e9e377a, v21
	v_fmac_f32_e32 v4, 0x3e9e377a, v21
	v_sub_f32_e32 v22, v22, v28
	v_mov_b32_e32 v21, v19
	v_add_f32_e32 v10, v10, v26
	v_fmac_f32_e32 v21, 0xbf737871, v22
	v_sub_f32_e32 v12, v12, v26
	v_sub_f32_e32 v25, v23, v13
	v_sub_f32_e32 v26, v29, v27
	v_fmac_f32_e32 v19, 0x3f737871, v22
	v_fmac_f32_e32 v21, 0xbf167918, v12
	v_add_f32_e32 v25, v25, v26
	v_fmac_f32_e32 v19, 0x3f167918, v12
	v_fmac_f32_e32 v21, 0x3e9e377a, v25
	;; [unrolled: 1-line block ×3, first 2 shown]
	v_add_f32_e32 v25, v23, v29
	v_add_f32_e32 v11, v5, v23
	v_fmac_f32_e32 v5, -0.5, v25
	v_mov_b32_e32 v25, v5
	v_fmac_f32_e32 v25, 0x3f737871, v12
	v_fmac_f32_e32 v5, 0xbf737871, v12
	v_mul_lo_u16_e32 v12, 5, v119
	v_lshl_add_u32 v139, v12, 3, v57
	s_barrier
	ds_write2_b64 v139, v[30:31], v[34:35] offset1:1
	ds_write2_b64 v139, v[36:37], v[0:1] offset0:2 offset1:3
	ds_write_b64 v139, v[32:33] offset:32
	v_mul_u32_u24_e32 v0, 5, v56
	v_lshl_add_u32 v134, v0, 3, v57
	v_mul_u32_u24_e32 v0, 5, v64
	v_lshl_add_u32 v133, v0, 3, v57
	v_mul_lo_u16_sdwa v0, v119, s8 dst_sel:DWORD dst_unused:UNUSED_PAD src0_sel:BYTE_0 src1_sel:DWORD
	v_lshrrev_b16_e32 v1, 10, v0
	v_add_f32_e32 v11, v11, v13
	v_mul_lo_u16_e32 v0, 5, v1
	v_add_f32_e32 v11, v11, v27
	v_sub_f32_e32 v13, v13, v23
	v_sub_f32_e32 v23, v27, v29
	ds_write2_b64 v134, v[6:7], v[14:15] offset1:1
	ds_write2_b64 v134, v[16:17], v[2:3] offset0:2 offset1:3
	ds_write_b64 v134, v[8:9] offset:32
	v_sub_u16_e32 v2, v119, v0
	v_mov_b32_e32 v0, 5
	v_add_f32_e32 v10, v10, v28
	v_add_f32_e32 v11, v11, v29
	v_fmac_f32_e32 v25, 0xbf167918, v22
	v_add_f32_e32 v13, v13, v23
	v_fmac_f32_e32 v5, 0x3f167918, v22
	v_lshlrev_b32_sdwa v3, v0, v2 dst_sel:DWORD dst_unused:UNUSED_PAD src0_sel:DWORD src1_sel:BYTE_0
	v_fmac_f32_e32 v25, 0x3e9e377a, v13
	v_fmac_f32_e32 v5, 0x3e9e377a, v13
	ds_write2_b64 v133, v[10:11], v[20:21] offset1:1
	ds_write2_b64 v133, v[24:25], v[4:5] offset0:2 offset1:3
	ds_write_b64 v133, v[18:19] offset:32
	s_waitcnt lgkmcnt(0)
	s_barrier
	global_load_dwordx4 v[20:23], v3, s[10:11]
	global_load_dwordx4 v[36:39], v3, s[10:11] offset:16
	v_mul_lo_u16_sdwa v3, v56, s8 dst_sel:DWORD dst_unused:UNUSED_PAD src0_sel:BYTE_0 src1_sel:DWORD
	v_lshrrev_b16_e32 v3, 10, v3
	v_mul_lo_u16_e32 v4, 5, v3
	v_sub_u16_e32 v4, v56, v4
	v_lshlrev_b32_sdwa v5, v0, v4 dst_sel:DWORD dst_unused:UNUSED_PAD src0_sel:DWORD src1_sel:BYTE_0
	s_mov_b32 s8, 0xcccd
	global_load_dwordx4 v[40:43], v5, s[10:11]
	global_load_dwordx4 v[44:47], v5, s[10:11] offset:16
	v_mul_u32_u24_sdwa v5, v64, s8 dst_sel:DWORD dst_unused:UNUSED_PAD src0_sel:WORD_0 src1_sel:DWORD
	v_lshrrev_b32_e32 v19, 18, v5
	v_mul_lo_u16_e32 v5, 5, v19
	v_sub_u16_e32 v62, v64, v5
	v_lshlrev_b16_e32 v5, 2, v62
	v_lshlrev_b32_e32 v5, 3, v5
	global_load_dwordx4 v[48:51], v5, s[10:11]
	global_load_dwordx4 v[52:55], v5, s[10:11] offset:16
	ds_read2_b64 v[5:8], v118 offset1:125
	ds_read2_b64 v[9:12], v125 offset0:122 offset1:247
	ds_read2_b64 v[13:16], v124 offset0:110 offset1:235
	;; [unrolled: 1-line block ×6, first 2 shown]
	ds_read_b64 v[17:18], v118 offset:14000
	v_mul_u32_u24_e32 v1, 25, v1
	v_add_u32_sdwa v1, v1, v2 dst_sel:DWORD dst_unused:UNUSED_PAD src0_sel:DWORD src1_sel:BYTE_0
	v_lshl_add_u32 v138, v1, 3, v57
	v_mul_u32_u24_e32 v1, 25, v3
	v_add_u32_sdwa v1, v1, v4 dst_sel:DWORD dst_unused:UNUSED_PAD src0_sel:DWORD src1_sel:BYTE_0
	v_lshl_add_u32 v130, v1, 3, v57
	v_mad_legacy_u16 v1, v19, 25, v62
	v_lshl_add_u32 v129, v1, 3, v57
	v_mov_b32_e32 v1, 41
	v_mul_lo_u16_sdwa v2, v119, v1 dst_sel:DWORD dst_unused:UNUSED_PAD src0_sel:BYTE_0 src1_sel:DWORD
	v_lshrrev_b16_e32 v62, 10, v2
	v_mul_lo_u16_e32 v2, 25, v62
	v_mul_lo_u16_sdwa v1, v56, v1 dst_sel:DWORD dst_unused:UNUSED_PAD src0_sel:BYTE_0 src1_sel:DWORD
	s_waitcnt vmcnt(0) lgkmcnt(0)
	s_barrier
	s_movk_i32 s8, 0x47af
	v_mul_f32_e32 v63, v12, v21
	v_fma_f32 v63, v11, v20, -v63
	v_mul_f32_e32 v65, v11, v21
	v_mul_f32_e32 v11, v14, v23
	v_fma_f32 v66, v13, v22, -v11
	v_mul_f32_e32 v11, v27, v37
	v_mul_f32_e32 v67, v13, v23
	v_fma_f32 v68, v26, v36, -v11
	v_mul_f32_e32 v26, v26, v37
	v_mul_f32_e32 v11, v29, v39
	v_fmac_f32_e32 v67, v14, v22
	v_fmac_f32_e32 v26, v27, v36
	v_fma_f32 v14, v28, v38, -v11
	v_mul_f32_e32 v27, v28, v39
	v_mul_f32_e32 v11, v33, v41
	v_fmac_f32_e32 v27, v29, v38
	v_fma_f32 v29, v32, v40, -v11
	v_mul_f32_e32 v32, v32, v41
	v_mul_f32_e32 v11, v16, v43
	v_fmac_f32_e32 v32, v33, v40
	v_fma_f32 v33, v15, v42, -v11
	v_mul_f32_e32 v11, v59, v45
	v_fma_f32 v70, v58, v44, -v11
	v_mul_f32_e32 v58, v58, v45
	v_mul_f32_e32 v11, v31, v47
	v_fmac_f32_e32 v58, v59, v44
	v_fma_f32 v59, v30, v46, -v11
	v_mul_f32_e32 v11, v35, v49
	v_fma_f32 v72, v34, v48, -v11
	v_mul_f32_e32 v11, v25, v51
	;; [unrolled: 2-line block ×3, first 2 shown]
	v_mul_f32_e32 v73, v34, v49
	v_fma_f32 v76, v60, v52, -v11
	v_mul_f32_e32 v11, v18, v55
	v_fmac_f32_e32 v73, v35, v48
	v_fma_f32 v35, v17, v54, -v11
	v_add_f32_e32 v11, v66, v68
	v_fmac_f32_e32 v65, v12, v20
	v_fma_f32 v11, -0.5, v11, v5
	v_mul_f32_e32 v69, v15, v43
	v_sub_f32_e32 v12, v65, v27
	v_mov_b32_e32 v13, v11
	v_fmac_f32_e32 v69, v16, v42
	v_mul_f32_e32 v78, v17, v55
	v_fmac_f32_e32 v13, 0x3f737871, v12
	v_sub_f32_e32 v16, v67, v26
	v_sub_f32_e32 v15, v63, v66
	;; [unrolled: 1-line block ×3, first 2 shown]
	v_fmac_f32_e32 v11, 0xbf737871, v12
	v_fmac_f32_e32 v13, 0x3f167918, v16
	v_add_f32_e32 v15, v15, v17
	v_fmac_f32_e32 v11, 0xbf167918, v16
	v_fmac_f32_e32 v13, 0x3e9e377a, v15
	;; [unrolled: 1-line block ×3, first 2 shown]
	v_add_f32_e32 v15, v63, v14
	v_fmac_f32_e32 v78, v18, v54
	v_fma_f32 v15, -0.5, v15, v5
	v_sub_f32_e32 v17, v66, v63
	v_sub_f32_e32 v18, v68, v14
	v_add_f32_e32 v18, v17, v18
	v_mov_b32_e32 v17, v15
	v_fmac_f32_e32 v17, 0xbf737871, v16
	v_fmac_f32_e32 v15, 0x3f737871, v16
	v_add_f32_e32 v5, v5, v63
	v_fmac_f32_e32 v17, 0x3f167918, v12
	v_fmac_f32_e32 v15, 0xbf167918, v12
	v_add_f32_e32 v5, v5, v66
	v_add_f32_e32 v12, v6, v65
	;; [unrolled: 1-line block ×4, first 2 shown]
	v_mul_f32_e32 v75, v24, v51
	v_add_f32_e32 v12, v12, v26
	v_add_f32_e32 v24, v5, v14
	;; [unrolled: 1-line block ×3, first 2 shown]
	v_fmac_f32_e32 v75, v25, v50
	v_add_f32_e32 v25, v12, v27
	v_fma_f32 v12, -0.5, v5, v6
	v_sub_f32_e32 v5, v63, v14
	v_mov_b32_e32 v14, v12
	v_fmac_f32_e32 v17, 0x3e9e377a, v18
	v_fmac_f32_e32 v15, 0x3e9e377a, v18
	;; [unrolled: 1-line block ×3, first 2 shown]
	v_sub_f32_e32 v28, v66, v68
	v_sub_f32_e32 v16, v65, v67
	;; [unrolled: 1-line block ×3, first 2 shown]
	v_fmac_f32_e32 v12, 0x3f737871, v5
	v_fmac_f32_e32 v14, 0xbf167918, v28
	v_add_f32_e32 v16, v16, v18
	v_fmac_f32_e32 v12, 0x3f167918, v28
	v_fmac_f32_e32 v14, 0x3e9e377a, v16
	;; [unrolled: 1-line block ×3, first 2 shown]
	v_add_f32_e32 v16, v65, v27
	v_fma_f32 v16, -0.5, v16, v6
	v_mov_b32_e32 v18, v16
	v_fmac_f32_e32 v18, 0x3f737871, v28
	v_fmac_f32_e32 v16, 0xbf737871, v28
	v_mul_f32_e32 v71, v30, v47
	v_fmac_f32_e32 v18, 0xbf167918, v5
	v_fmac_f32_e32 v16, 0x3f167918, v5
	v_add_f32_e32 v5, v33, v70
	v_fmac_f32_e32 v71, v31, v46
	v_sub_f32_e32 v6, v67, v65
	v_sub_f32_e32 v26, v26, v27
	v_fma_f32 v5, -0.5, v5, v7
	v_add_f32_e32 v6, v6, v26
	v_sub_f32_e32 v27, v32, v71
	v_mov_b32_e32 v26, v5
	v_sub_f32_e32 v28, v29, v33
	v_sub_f32_e32 v30, v59, v70
	v_fmac_f32_e32 v26, 0x3f737871, v27
	v_add_f32_e32 v28, v28, v30
	v_sub_f32_e32 v30, v69, v58
	v_fmac_f32_e32 v5, 0xbf737871, v27
	v_fmac_f32_e32 v26, 0x3f167918, v30
	v_fmac_f32_e32 v5, 0xbf167918, v30
	v_fmac_f32_e32 v26, 0x3e9e377a, v28
	v_fmac_f32_e32 v5, 0x3e9e377a, v28
	v_add_f32_e32 v28, v29, v59
	v_fmac_f32_e32 v18, 0x3e9e377a, v6
	v_fmac_f32_e32 v16, 0x3e9e377a, v6
	v_add_f32_e32 v6, v7, v29
	v_fma_f32 v7, -0.5, v28, v7
	v_sub_f32_e32 v28, v33, v29
	v_sub_f32_e32 v31, v70, v59
	v_add_f32_e32 v31, v28, v31
	v_mov_b32_e32 v28, v7
	v_fmac_f32_e32 v28, 0xbf737871, v30
	v_fmac_f32_e32 v7, 0x3f737871, v30
	v_add_f32_e32 v6, v6, v33
	v_fmac_f32_e32 v28, 0x3f167918, v27
	v_fmac_f32_e32 v7, 0xbf167918, v27
	v_add_f32_e32 v6, v6, v70
	v_add_f32_e32 v27, v8, v32
	;; [unrolled: 1-line block ×6, first 2 shown]
	v_fma_f32 v6, -0.5, v6, v8
	v_fmac_f32_e32 v28, 0x3e9e377a, v31
	v_fmac_f32_e32 v7, 0x3e9e377a, v31
	v_add_f32_e32 v31, v27, v71
	v_sub_f32_e32 v34, v29, v59
	v_mov_b32_e32 v27, v6
	v_fmac_f32_e32 v27, 0xbf737871, v34
	v_sub_f32_e32 v33, v33, v70
	v_sub_f32_e32 v29, v32, v69
	;; [unrolled: 1-line block ×3, first 2 shown]
	v_fmac_f32_e32 v6, 0x3f737871, v34
	v_fmac_f32_e32 v27, 0xbf167918, v33
	v_add_f32_e32 v29, v29, v59
	v_fmac_f32_e32 v6, 0x3f167918, v33
	v_fmac_f32_e32 v27, 0x3e9e377a, v29
	;; [unrolled: 1-line block ×3, first 2 shown]
	v_add_f32_e32 v29, v32, v71
	v_fmac_f32_e32 v8, -0.5, v29
	v_mov_b32_e32 v29, v8
	v_fmac_f32_e32 v29, 0x3f737871, v33
	v_sub_f32_e32 v32, v69, v32
	v_sub_f32_e32 v58, v58, v71
	v_fmac_f32_e32 v8, 0xbf737871, v33
	v_fmac_f32_e32 v29, 0xbf167918, v34
	v_add_f32_e32 v32, v32, v58
	v_fmac_f32_e32 v8, 0x3f167918, v34
	v_fmac_f32_e32 v29, 0x3e9e377a, v32
	;; [unrolled: 1-line block ×3, first 2 shown]
	v_add_f32_e32 v32, v74, v76
	v_mul_f32_e32 v77, v60, v53
	v_fma_f32 v32, -0.5, v32, v9
	v_fmac_f32_e32 v77, v61, v52
	v_sub_f32_e32 v59, v73, v78
	v_mov_b32_e32 v34, v32
	v_sub_f32_e32 v58, v72, v74
	v_sub_f32_e32 v60, v35, v76
	v_fmac_f32_e32 v34, 0x3f737871, v59
	v_add_f32_e32 v58, v58, v60
	v_sub_f32_e32 v60, v75, v77
	v_fmac_f32_e32 v32, 0xbf737871, v59
	v_fmac_f32_e32 v34, 0x3f167918, v60
	;; [unrolled: 1-line block ×5, first 2 shown]
	v_add_f32_e32 v58, v72, v35
	v_add_f32_e32 v33, v9, v72
	v_fma_f32 v9, -0.5, v58, v9
	v_sub_f32_e32 v58, v74, v72
	v_sub_f32_e32 v61, v76, v35
	v_add_f32_e32 v61, v58, v61
	v_mov_b32_e32 v58, v9
	v_add_f32_e32 v33, v33, v74
	v_fmac_f32_e32 v58, 0xbf737871, v60
	v_fmac_f32_e32 v9, 0x3f737871, v60
	v_add_f32_e32 v33, v33, v76
	v_fmac_f32_e32 v58, 0x3f167918, v59
	v_fmac_f32_e32 v9, 0xbf167918, v59
	v_add_f32_e32 v59, v10, v73
	v_add_f32_e32 v60, v33, v35
	;; [unrolled: 1-line block ×4, first 2 shown]
	v_fma_f32 v33, -0.5, v33, v10
	v_add_f32_e32 v59, v59, v77
	v_sub_f32_e32 v63, v72, v35
	v_mov_b32_e32 v35, v33
	v_fmac_f32_e32 v58, 0x3e9e377a, v61
	v_fmac_f32_e32 v9, 0x3e9e377a, v61
	v_add_f32_e32 v61, v59, v78
	v_fmac_f32_e32 v35, 0xbf737871, v63
	v_sub_f32_e32 v65, v74, v76
	v_sub_f32_e32 v59, v73, v75
	;; [unrolled: 1-line block ×3, first 2 shown]
	v_fmac_f32_e32 v33, 0x3f737871, v63
	v_fmac_f32_e32 v35, 0xbf167918, v65
	v_add_f32_e32 v59, v59, v66
	v_fmac_f32_e32 v33, 0x3f167918, v65
	v_fmac_f32_e32 v35, 0x3e9e377a, v59
	;; [unrolled: 1-line block ×3, first 2 shown]
	v_add_f32_e32 v59, v73, v78
	v_fmac_f32_e32 v10, -0.5, v59
	v_mov_b32_e32 v59, v10
	v_fmac_f32_e32 v59, 0x3f737871, v65
	v_fmac_f32_e32 v10, 0xbf737871, v65
	;; [unrolled: 1-line block ×3, first 2 shown]
	v_sub_f32_e32 v66, v75, v73
	v_sub_f32_e32 v67, v77, v78
	v_fmac_f32_e32 v10, 0x3f167918, v63
	v_sub_u16_e32 v63, v119, v2
	v_add_f32_e32 v66, v66, v67
	v_lshlrev_b32_sdwa v2, v0, v63 dst_sel:DWORD dst_unused:UNUSED_PAD src0_sel:DWORD src1_sel:BYTE_0
	v_fmac_f32_e32 v59, 0x3e9e377a, v66
	v_fmac_f32_e32 v10, 0x3e9e377a, v66
	ds_write2_b64 v138, v[24:25], v[13:14] offset1:5
	ds_write2_b64 v138, v[17:18], v[15:16] offset0:10 offset1:15
	ds_write_b64 v138, v[11:12] offset:160
	ds_write2_b64 v130, v[30:31], v[26:27] offset1:5
	ds_write2_b64 v130, v[28:29], v[7:8] offset0:10 offset1:15
	ds_write_b64 v130, v[5:6] offset:160
	ds_write2_b64 v129, v[60:61], v[34:35] offset1:5
	ds_write2_b64 v129, v[58:59], v[9:10] offset0:10 offset1:15
	ds_write_b64 v129, v[32:33] offset:160
	s_waitcnt lgkmcnt(0)
	s_barrier
	global_load_dwordx4 v[28:31], v2, s[10:11] offset:160
	v_lshrrev_b16_e32 v67, 10, v1
	v_mul_lo_u16_e32 v1, 25, v67
	v_sub_u16_e32 v68, v56, v1
	v_lshlrev_b32_sdwa v0, v0, v68 dst_sel:DWORD dst_unused:UNUSED_PAD src0_sel:DWORD src1_sel:BYTE_0
	global_load_dwordx4 v[32:35], v0, s[10:11] offset:160
	global_load_dwordx4 v[12:15], v2, s[10:11] offset:176
	;; [unrolled: 1-line block ×3, first 2 shown]
	ds_read2_b64 v[0:3], v125 offset0:122 offset1:247
	ds_read2_b64 v[4:7], v118 offset1:125
	ds_read2_b64 v[16:19], v124 offset0:110 offset1:235
	ds_read2_b64 v[24:27], v123 offset0:104 offset1:229
	;; [unrolled: 1-line block ×3, first 2 shown]
	v_mul_u32_u24_e32 v67, 0x7d, v67
	v_add_u32_sdwa v67, v67, v68 dst_sel:DWORD dst_unused:UNUSED_PAD src0_sel:DWORD src1_sel:BYTE_0
	v_lshlrev_b32_e32 v56, 4, v56
	s_waitcnt vmcnt(3) lgkmcnt(4)
	v_mul_f32_e32 v65, v3, v29
	v_fma_f32 v69, v2, v28, -v65
	v_mul_f32_e32 v70, v2, v29
	s_waitcnt lgkmcnt(2)
	v_mul_f32_e32 v2, v17, v31
	v_fma_f32 v71, v16, v30, -v2
	s_waitcnt vmcnt(2)
	v_mul_f32_e32 v2, v19, v35
	v_fma_f32 v82, v18, v34, -v2
	s_waitcnt vmcnt(1) lgkmcnt(0)
	v_mul_f32_e32 v2, v59, v15
	v_fma_f32 v127, v58, v14, -v2
	s_waitcnt vmcnt(0)
	v_mul_f32_e32 v2, v61, v11
	v_fma_f32 v135, v60, v10, -v2
	v_mul_f32_e32 v2, v27, v13
	v_fma_f32 v137, v26, v12, -v2
	v_mul_u32_u24_sdwa v2, v64, s8 dst_sel:DWORD dst_unused:UNUSED_PAD src0_sel:WORD_0 src1_sel:DWORD
	v_fmac_f32_e32 v70, v3, v28
	v_sub_u16_sdwa v3, v64, v2 dst_sel:DWORD dst_unused:UNUSED_PAD src0_sel:DWORD src1_sel:WORD_1
	v_lshrrev_b16_e32 v3, 1, v3
	v_mul_f32_e32 v81, v16, v31
	v_add_u16_sdwa v16, v3, v2 dst_sel:DWORD dst_unused:UNUSED_PAD src0_sel:DWORD src1_sel:WORD_1
	v_mul_f32_e32 v141, v26, v13
	v_lshrrev_b16_e32 v143, 4, v16
	v_fmac_f32_e32 v81, v17, v30
	v_mul_f32_e32 v128, v58, v15
	v_fmac_f32_e32 v141, v27, v12
	v_add_f32_e32 v17, v71, v137
	v_mul_lo_u16_e32 v16, 25, v143
	v_fmac_f32_e32 v128, v59, v14
	v_fma_f32 v26, -0.5, v17, v4
	v_add_f32_e32 v17, v81, v141
	v_sub_u16_e32 v144, v64, v16
	v_mul_f32_e32 v83, v18, v35
	v_fma_f32 v27, -0.5, v17, v5
	v_sub_f32_e32 v17, v70, v81
	v_sub_f32_e32 v18, v128, v141
	v_lshlrev_b16_e32 v16, 5, v144
	v_add_f32_e32 v142, v17, v18
	v_mul_u32_u24_e32 v17, 0x7d, v62
	v_add_co_u32_e32 v16, vcc, s10, v16
	v_add_u32_sdwa v126, v17, v63 dst_sel:DWORD dst_unused:UNUSED_PAD src0_sel:DWORD src1_sel:BYTE_0
	v_addc_co_u32_e32 v17, vcc, 0, v80, vcc
	ds_read_b64 v[65:66], v118 offset:14000
	global_load_dwordx4 v[72:75], v[16:17], off offset:176
	global_load_dwordx4 v[76:79], v[16:17], off offset:160
	v_sub_f32_e32 v2, v69, v71
	v_sub_f32_e32 v3, v127, v137
	v_add_f32_e32 v140, v2, v3
	v_add_f32_e32 v2, v4, v69
	v_add_f32_e32 v3, v5, v70
	v_sub_f32_e32 v145, v70, v128
	v_mov_b32_e32 v62, v26
	v_mov_b32_e32 v63, v27
	v_sub_f32_e32 v147, v69, v127
	v_add_f32_e32 v2, v2, v71
	v_add_f32_e32 v3, v3, v81
	v_fmac_f32_e32 v62, 0x3f737871, v145
	v_sub_f32_e32 v146, v81, v141
	v_fmac_f32_e32 v63, 0xbf737871, v147
	v_sub_f32_e32 v148, v71, v137
	v_add_f32_e32 v2, v2, v137
	v_add_f32_e32 v3, v3, v141
	v_fmac_f32_e32 v62, 0x3f167918, v146
	v_fmac_f32_e32 v63, 0xbf167918, v148
	v_mul_f32_e32 v136, v60, v11
	v_add_f32_e32 v2, v2, v127
	v_add_f32_e32 v3, v3, v128
	v_fmac_f32_e32 v62, 0x3e9e377a, v140
	v_fmac_f32_e32 v63, 0x3e9e377a, v142
	v_lshl_add_u32 v126, v126, 3, v57
	v_fmac_f32_e32 v83, v19, v34
	v_fmac_f32_e32 v136, v61, v10
	ds_read2_b64 v[16:19], v121 offset0:116 offset1:241
	ds_read2_b64 v[58:61], v120 offset0:98 offset1:223
	s_waitcnt vmcnt(0) lgkmcnt(0)
	s_barrier
	ds_write2_b64 v126, v[2:3], v[62:63] offset1:25
	v_sub_f32_e32 v2, v71, v69
	v_add_f32_e32 v3, v69, v127
	v_sub_f32_e32 v62, v137, v127
	v_add_f32_e32 v62, v2, v62
	v_fma_f32 v2, -0.5, v3, v4
	v_mov_b32_e32 v4, v2
	v_fmac_f32_e32 v4, 0xbf737871, v146
	v_fmac_f32_e32 v2, 0x3f737871, v146
	;; [unrolled: 1-line block ×4, first 2 shown]
	v_add_f32_e32 v3, v70, v128
	v_fmac_f32_e32 v4, 0x3e9e377a, v62
	v_fmac_f32_e32 v2, 0x3e9e377a, v62
	v_fma_f32 v3, -0.5, v3, v5
	v_sub_f32_e32 v5, v81, v70
	v_sub_f32_e32 v62, v141, v128
	v_add_f32_e32 v62, v5, v62
	v_mov_b32_e32 v5, v3
	v_fmac_f32_e32 v5, 0x3f737871, v148
	v_fmac_f32_e32 v3, 0xbf737871, v148
	;; [unrolled: 1-line block ×10, first 2 shown]
	ds_write2_b64 v126, v[4:5], v[2:3] offset0:50 offset1:75
	v_fmac_f32_e32 v26, 0x3e9e377a, v140
	v_fmac_f32_e32 v27, 0x3e9e377a, v142
	v_mul_f32_e32 v2, v17, v33
	ds_write_b64 v126, v[26:27] offset:800
	v_fma_f32 v26, v16, v32, -v2
	v_mul_f32_e32 v2, v59, v9
	v_fma_f32 v27, v58, v8, -v2
	v_mul_f32_e32 v16, v16, v33
	v_add_f32_e32 v2, v82, v27
	v_add_f32_e32 v3, v26, v135
	v_fmac_f32_e32 v16, v17, v32
	v_mul_f32_e32 v17, v58, v9
	v_add_f32_e32 v62, v6, v26
	v_fma_f32 v2, -0.5, v2, v6
	v_fma_f32 v6, -0.5, v3, v6
	v_sub_f32_e32 v3, v82, v26
	v_sub_f32_e32 v4, v27, v135
	v_fmac_f32_e32 v17, v59, v8
	v_add_f32_e32 v3, v3, v4
	v_sub_f32_e32 v58, v83, v17
	v_mov_b32_e32 v4, v6
	v_fmac_f32_e32 v4, 0xbf737871, v58
	v_sub_f32_e32 v59, v16, v136
	v_fmac_f32_e32 v6, 0x3f737871, v58
	v_fmac_f32_e32 v4, 0x3f167918, v59
	;; [unrolled: 1-line block ×5, first 2 shown]
	v_add_f32_e32 v3, v83, v17
	v_add_f32_e32 v5, v16, v136
	v_fma_f32 v3, -0.5, v3, v7
	v_add_f32_e32 v63, v7, v16
	v_fmac_f32_e32 v7, -0.5, v5
	v_sub_f32_e32 v5, v83, v16
	v_sub_f32_e32 v69, v17, v136
	v_add_f32_e32 v69, v5, v69
	v_mov_b32_e32 v5, v7
	v_sub_f32_e32 v70, v82, v27
	v_fmac_f32_e32 v5, 0x3f737871, v70
	v_sub_f32_e32 v71, v26, v135
	v_fmac_f32_e32 v7, 0xbf737871, v70
	v_fmac_f32_e32 v5, 0xbf167918, v71
	v_fmac_f32_e32 v7, 0x3f167918, v71
	v_fmac_f32_e32 v5, 0x3e9e377a, v69
	v_fmac_f32_e32 v7, 0x3e9e377a, v69
	v_lshl_add_u32 v127, v67, 3, v57
	ds_write2_b64 v127, v[4:5], v[6:7] offset0:50 offset1:75
	v_mul_f32_e32 v4, v19, v77
	v_sub_f32_e32 v5, v26, v82
	v_sub_f32_e32 v6, v135, v27
	v_fma_f32 v67, v18, v76, -v4
	v_mul_f32_e32 v68, v18, v77
	v_mul_f32_e32 v4, v25, v79
	v_add_f32_e32 v18, v5, v6
	v_sub_f32_e32 v6, v16, v83
	v_sub_f32_e32 v7, v136, v17
	v_fma_f32 v69, v24, v78, -v4
	v_mul_f32_e32 v24, v24, v79
	v_mul_f32_e32 v4, v61, v73
	v_add_f32_e32 v16, v6, v7
	v_mov_b32_e32 v6, v2
	v_mov_b32_e32 v7, v3
	v_fmac_f32_e32 v24, v25, v78
	v_fma_f32 v25, v60, v72, -v4
	v_add_f32_e32 v4, v62, v82
	v_add_f32_e32 v5, v63, v83
	v_fmac_f32_e32 v6, 0x3f737871, v59
	v_fmac_f32_e32 v7, 0xbf737871, v71
	v_add_f32_e32 v4, v4, v27
	v_add_f32_e32 v5, v5, v17
	v_fmac_f32_e32 v6, 0x3f167918, v58
	v_fmac_f32_e32 v7, 0xbf167918, v70
	;; [unrolled: 4-line block ×3, first 2 shown]
	ds_write2_b64 v127, v[4:5], v[6:7] offset1:25
	v_mul_f32_e32 v4, v66, v75
	v_fma_f32 v7, v65, v74, -v4
	v_mul_f32_e32 v17, v65, v75
	v_fmac_f32_e32 v2, 0xbf737871, v59
	v_add_f32_e32 v4, v69, v25
	v_fmac_f32_e32 v68, v19, v76
	v_mul_f32_e32 v60, v60, v73
	v_fmac_f32_e32 v17, v66, v74
	v_fmac_f32_e32 v2, 0xbf167918, v58
	v_sub_f32_e32 v5, v67, v69
	v_sub_f32_e32 v6, v7, v25
	v_fma_f32 v4, -0.5, v4, v0
	v_fmac_f32_e32 v60, v61, v72
	v_fmac_f32_e32 v2, 0x3e9e377a, v18
	;; [unrolled: 1-line block ×3, first 2 shown]
	v_add_f32_e32 v5, v5, v6
	v_sub_f32_e32 v18, v68, v17
	v_mov_b32_e32 v6, v4
	v_fmac_f32_e32 v3, 0x3f167918, v70
	v_fmac_f32_e32 v6, 0x3f737871, v18
	v_sub_f32_e32 v19, v24, v60
	v_fmac_f32_e32 v4, 0xbf737871, v18
	v_fmac_f32_e32 v3, 0x3e9e377a, v16
	;; [unrolled: 1-line block ×4, first 2 shown]
	v_add_f32_e32 v16, v67, v7
	v_fmac_f32_e32 v6, 0x3e9e377a, v5
	v_fmac_f32_e32 v4, 0x3e9e377a, v5
	v_add_f32_e32 v5, v0, v67
	v_fma_f32 v0, -0.5, v16, v0
	v_sub_f32_e32 v16, v69, v67
	v_sub_f32_e32 v26, v25, v7
	v_add_f32_e32 v26, v16, v26
	v_mov_b32_e32 v16, v0
	v_fmac_f32_e32 v16, 0xbf737871, v19
	v_fmac_f32_e32 v0, 0x3f737871, v19
	;; [unrolled: 1-line block ×4, first 2 shown]
	v_add_f32_e32 v5, v5, v69
	v_add_f32_e32 v18, v1, v68
	;; [unrolled: 1-line block ×7, first 2 shown]
	v_fmac_f32_e32 v16, 0x3e9e377a, v26
	v_fmac_f32_e32 v0, 0x3e9e377a, v26
	v_fma_f32 v5, -0.5, v5, v1
	v_sub_f32_e32 v26, v67, v7
	v_sub_f32_e32 v7, v68, v24
	v_sub_f32_e32 v27, v17, v60
	v_add_f32_e32 v27, v7, v27
	v_mov_b32_e32 v7, v5
	v_sub_f32_e32 v25, v69, v25
	v_fmac_f32_e32 v7, 0xbf737871, v26
	v_fmac_f32_e32 v5, 0x3f737871, v26
	;; [unrolled: 1-line block ×6, first 2 shown]
	v_add_f32_e32 v27, v68, v17
	v_add_f32_e32 v19, v19, v17
	v_fmac_f32_e32 v1, -0.5, v27
	v_sub_f32_e32 v24, v24, v68
	v_sub_f32_e32 v17, v60, v17
	v_add_f32_e32 v24, v24, v17
	v_mov_b32_e32 v17, v1
	v_fmac_f32_e32 v17, 0x3f737871, v25
	v_fmac_f32_e32 v1, 0xbf737871, v25
	ds_write_b64 v127, v[2:3] offset:800
	v_mad_legacy_u16 v2, v143, s7, v144
	v_fmac_f32_e32 v17, 0xbf167918, v26
	v_fmac_f32_e32 v1, 0x3f167918, v26
	v_lshl_add_u32 v128, v2, 3, v57
	s_movk_i32 s7, 0x625
	v_fmac_f32_e32 v17, 0x3e9e377a, v24
	v_fmac_f32_e32 v1, 0x3e9e377a, v24
	ds_write2_b64 v128, v[18:19], v[6:7] offset1:25
	ds_write2_b64 v128, v[16:17], v[0:1] offset0:50 offset1:75
	ds_write_b64 v128, v[4:5] offset:800
	v_lshlrev_b32_e32 v0, 5, v119
	v_mul_u32_u24_sdwa v16, v64, s7 dst_sel:DWORD dst_unused:UNUSED_PAD src0_sel:WORD_0 src1_sel:DWORD
	s_waitcnt lgkmcnt(0)
	s_barrier
	global_load_dwordx4 v[4:7], v0, s[10:11] offset:960
	s_nop 0
	global_load_dwordx4 v[0:3], v0, s[10:11] offset:976
	v_sub_u16_sdwa v17, v64, v16 dst_sel:DWORD dst_unused:UNUSED_PAD src0_sel:DWORD src1_sel:WORD_1
	v_lshrrev_b16_e32 v17, 1, v17
	v_add_u16_sdwa v16, v17, v16 dst_sel:DWORD dst_unused:UNUSED_PAD src0_sel:DWORD src1_sel:WORD_1
	v_lshrrev_b16_e32 v16, 6, v16
	v_mul_lo_u16_e32 v16, 0x7d, v16
	v_sub_u16_e32 v71, v64, v16
	v_lshlrev_b16_e32 v16, 5, v71
	v_add_co_u32_e32 v58, vcc, s10, v16
	v_addc_co_u32_e32 v59, vcc, 0, v80, vcc
	global_load_dwordx4 v[16:19], v[58:59], off offset:960
	global_load_dwordx4 v[24:27], v[58:59], off offset:976
	ds_read2_b64 v[58:61], v124 offset0:110 offset1:235
	ds_read2_b64 v[65:68], v122 offset0:92 offset1:217
	v_lshlrev_b32_e32 v64, 4, v64
	s_waitcnt vmcnt(3) lgkmcnt(1)
	v_mul_f32_e32 v62, v59, v7
	v_fma_f32 v83, v58, v6, -v62
	v_mul_f32_e32 v137, v58, v7
	v_mul_f32_e32 v58, v61, v7
	v_fma_f32 v140, v60, v6, -v58
	v_mul_f32_e32 v141, v60, v7
	s_waitcnt vmcnt(2) lgkmcnt(0)
	v_mul_f32_e32 v58, v66, v3
	v_fmac_f32_e32 v137, v59, v6
	v_fmac_f32_e32 v141, v61, v6
	v_fma_f32 v142, v65, v2, -v58
	ds_read2_b64 v[58:61], v121 offset0:116 offset1:241
	v_mul_f32_e32 v143, v65, v3
	v_mul_f32_e32 v62, v68, v3
	;; [unrolled: 1-line block ×3, first 2 shown]
	v_fmac_f32_e32 v143, v66, v2
	v_fma_f32 v144, v67, v2, -v62
	v_fmac_f32_e32 v145, v68, v2
	ds_read2_b64 v[65:68], v123 offset0:104 offset1:229
	s_waitcnt lgkmcnt(1)
	v_mul_f32_e32 v62, v59, v5
	v_fma_f32 v70, v58, v4, -v62
	v_mul_f32_e32 v69, v58, v5
	s_waitcnt vmcnt(1)
	v_mul_f32_e32 v58, v61, v17
	v_fma_f32 v146, v60, v16, -v58
	v_mul_f32_e32 v147, v60, v17
	s_waitcnt lgkmcnt(0)
	v_mul_f32_e32 v58, v68, v1
	v_fmac_f32_e32 v69, v59, v4
	v_fmac_f32_e32 v147, v61, v16
	v_fma_f32 v148, v67, v0, -v58
	ds_read2_b64 v[58:61], v120 offset0:98 offset1:223
	v_mul_f32_e32 v149, v67, v1
	v_mul_f32_e32 v62, v66, v19
	;; [unrolled: 1-line block ×3, first 2 shown]
	v_fmac_f32_e32 v149, v68, v0
	v_fma_f32 v150, v65, v18, -v62
	v_fmac_f32_e32 v151, v66, v18
	ds_read2_b64 v[65:68], v118 offset1:125
	s_waitcnt lgkmcnt(1)
	v_mul_f32_e32 v62, v59, v1
	v_fma_f32 v152, v58, v0, -v62
	v_mul_f32_e32 v153, v58, v1
	s_waitcnt vmcnt(0)
	v_mul_f32_e32 v58, v61, v25
	v_fmac_f32_e32 v153, v59, v0
	v_fma_f32 v154, v60, v24, -v58
	v_sub_f32_e32 v58, v70, v140
	v_sub_f32_e32 v59, v144, v152
	v_add_f32_e32 v156, v58, v59
	v_add_f32_e32 v58, v140, v152
	s_waitcnt lgkmcnt(0)
	v_fma_f32 v62, -0.5, v58, v67
	v_add_f32_e32 v58, v70, v144
	v_add_f32_e32 v157, v67, v70
	v_fma_f32 v67, -0.5, v58, v67
	v_sub_f32_e32 v58, v140, v70
	v_sub_f32_e32 v59, v152, v144
	v_add_f32_e32 v158, v58, v59
	v_add_f32_e32 v58, v141, v153
	v_fma_f32 v63, -0.5, v58, v68
	v_sub_f32_e32 v58, v69, v141
	v_sub_f32_e32 v59, v145, v153
	v_add_f32_e32 v159, v58, v59
	v_add_f32_e32 v58, v69, v145
	v_mul_f32_e32 v155, v60, v25
	v_add_f32_e32 v160, v68, v69
	v_fmac_f32_e32 v68, -0.5, v58
	v_sub_f32_e32 v58, v141, v69
	v_sub_f32_e32 v59, v153, v145
	v_fmac_f32_e32 v155, v61, v24
	v_add_f32_e32 v161, v58, v59
	ds_read_b64 v[135:136], v118 offset:14000
	ds_read2_b64 v[58:61], v125 offset0:122 offset1:247
	v_sub_f32_e32 v162, v69, v145
	v_sub_f32_e32 v163, v141, v153
	v_sub_f32_e32 v164, v70, v144
	v_sub_f32_e32 v165, v140, v152
	v_mov_b32_e32 v69, v62
	v_fmac_f32_e32 v62, 0xbf737871, v162
	v_mov_b32_e32 v81, v67
	v_fmac_f32_e32 v67, 0x3f737871, v163
	;; [unrolled: 2-line block ×4, first 2 shown]
	v_fmac_f32_e32 v62, 0xbf167918, v163
	v_fmac_f32_e32 v67, 0xbf167918, v162
	;; [unrolled: 1-line block ×8, first 2 shown]
	s_waitcnt lgkmcnt(0)
	s_barrier
	ds_write2_b64 v123, v[67:68], v[62:63] offset0:104 offset1:229
	v_mul_f32_e32 v67, v61, v5
	v_fma_f32 v166, v60, v4, -v67
	v_mul_f32_e32 v167, v60, v5
	v_add_f32_e32 v62, v83, v148
	v_add_f32_e32 v63, v137, v149
	v_fmac_f32_e32 v167, v61, v4
	v_sub_f32_e32 v67, v166, v83
	v_sub_f32_e32 v68, v142, v148
	v_fma_f32 v62, -0.5, v62, v65
	v_fma_f32 v63, -0.5, v63, v66
	v_add_f32_e32 v60, v166, v142
	v_add_f32_e32 v61, v167, v143
	;; [unrolled: 1-line block ×3, first 2 shown]
	v_sub_f32_e32 v67, v167, v137
	v_sub_f32_e32 v68, v143, v149
	v_fma_f32 v60, -0.5, v60, v65
	v_fma_f32 v61, -0.5, v61, v66
	v_add_f32_e32 v65, v65, v166
	v_add_f32_e32 v66, v66, v167
	;; [unrolled: 1-line block ×3, first 2 shown]
	v_sub_f32_e32 v170, v167, v143
	v_mov_b32_e32 v67, v62
	v_mov_b32_e32 v68, v63
	v_sub_f32_e32 v172, v166, v142
	v_add_f32_e32 v65, v65, v83
	v_add_f32_e32 v66, v66, v137
	v_fmac_f32_e32 v67, 0x3f737871, v170
	v_sub_f32_e32 v171, v137, v149
	v_fmac_f32_e32 v68, 0xbf737871, v172
	v_sub_f32_e32 v173, v83, v148
	v_add_f32_e32 v65, v65, v148
	v_add_f32_e32 v66, v66, v149
	v_fmac_f32_e32 v67, 0x3f167918, v171
	v_fmac_f32_e32 v68, 0xbf167918, v173
	v_add_f32_e32 v65, v65, v142
	v_add_f32_e32 v66, v66, v143
	v_fmac_f32_e32 v67, 0x3e9e377a, v168
	v_fmac_f32_e32 v68, 0x3e9e377a, v169
	ds_write2_b64 v118, v[65:66], v[67:68] offset1:125
	v_sub_f32_e32 v65, v83, v166
	v_sub_f32_e32 v66, v148, v142
	v_add_f32_e32 v66, v65, v66
	v_mov_b32_e32 v65, v60
	v_fmac_f32_e32 v65, 0xbf737871, v171
	v_fmac_f32_e32 v60, 0x3f737871, v171
	;; [unrolled: 1-line block ×6, first 2 shown]
	v_sub_f32_e32 v66, v137, v167
	v_sub_f32_e32 v67, v149, v143
	v_add_f32_e32 v67, v66, v67
	v_mov_b32_e32 v66, v61
	v_fmac_f32_e32 v66, 0x3f737871, v173
	v_fmac_f32_e32 v61, 0xbf737871, v173
	;; [unrolled: 1-line block ×6, first 2 shown]
	ds_write2_b64 v125, v[65:66], v[60:61] offset0:122 offset1:247
	v_add_f32_e32 v60, v157, v140
	v_add_f32_e32 v61, v160, v141
	v_fmac_f32_e32 v62, 0xbf737871, v170
	v_fmac_f32_e32 v63, 0x3f737871, v172
	v_add_f32_e32 v60, v60, v152
	v_add_f32_e32 v61, v61, v153
	v_fmac_f32_e32 v62, 0xbf167918, v171
	v_fmac_f32_e32 v63, 0x3f167918, v173
	;; [unrolled: 4-line block ×3, first 2 shown]
	ds_write2_b64 v121, v[62:63], v[60:61] offset0:116 offset1:241
	v_mul_f32_e32 v60, v136, v27
	v_fma_f32 v65, v135, v26, -v60
	v_fmac_f32_e32 v69, 0x3f737871, v162
	v_fmac_f32_e32 v81, 0xbf737871, v163
	v_fmac_f32_e32 v70, 0xbf737871, v164
	v_fmac_f32_e32 v82, 0x3f737871, v165
	v_add_f32_e32 v60, v150, v154
	v_add_f32_e32 v61, v146, v65
	v_fmac_f32_e32 v69, 0x3f167918, v163
	v_fmac_f32_e32 v81, 0x3f167918, v162
	;; [unrolled: 1-line block ×4, first 2 shown]
	v_mul_f32_e32 v66, v135, v27
	v_add_f32_e32 v67, v58, v146
	v_fma_f32 v60, -0.5, v60, v58
	v_fma_f32 v58, -0.5, v61, v58
	v_sub_f32_e32 v61, v150, v146
	v_sub_f32_e32 v62, v154, v65
	v_fmac_f32_e32 v69, 0x3e9e377a, v156
	v_fmac_f32_e32 v81, 0x3e9e377a, v158
	;; [unrolled: 1-line block ×5, first 2 shown]
	v_add_f32_e32 v61, v61, v62
	v_sub_f32_e32 v68, v151, v155
	v_mov_b32_e32 v62, v58
	ds_write2_b64 v124, v[69:70], v[81:82] offset0:110 offset1:235
	v_fmac_f32_e32 v62, 0xbf737871, v68
	v_sub_f32_e32 v69, v147, v66
	v_fmac_f32_e32 v58, 0x3f737871, v68
	v_fmac_f32_e32 v62, 0x3f167918, v69
	;; [unrolled: 1-line block ×5, first 2 shown]
	v_add_f32_e32 v61, v151, v155
	v_add_f32_e32 v63, v147, v66
	v_fma_f32 v61, -0.5, v61, v59
	v_add_f32_e32 v70, v59, v147
	v_fmac_f32_e32 v59, -0.5, v63
	v_sub_f32_e32 v63, v151, v147
	v_sub_f32_e32 v81, v155, v66
	v_add_f32_e32 v81, v63, v81
	v_mov_b32_e32 v63, v59
	v_sub_f32_e32 v82, v150, v154
	v_fmac_f32_e32 v63, 0x3f737871, v82
	v_sub_f32_e32 v83, v146, v65
	v_fmac_f32_e32 v59, 0xbf737871, v82
	v_fmac_f32_e32 v63, 0xbf167918, v83
	;; [unrolled: 1-line block ×3, first 2 shown]
	v_lshl_add_u32 v135, v71, 3, v57
	v_fmac_f32_e32 v63, 0x3e9e377a, v81
	v_fmac_f32_e32 v59, 0x3e9e377a, v81
	v_add_u32_e32 v136, 0x2c00, v135
	v_add_f32_e32 v57, v67, v150
	ds_write2_b64 v136, v[62:63], v[58:59] offset0:92 offset1:217
	v_add_f32_e32 v57, v57, v154
	v_sub_f32_e32 v62, v147, v151
	v_sub_f32_e32 v63, v66, v155
	;; [unrolled: 1-line block ×4, first 2 shown]
	v_add_f32_e32 v57, v57, v65
	v_add_f32_e32 v65, v62, v63
	v_mov_b32_e32 v62, v60
	v_mov_b32_e32 v63, v61
	v_add_f32_e32 v59, v58, v59
	v_add_f32_e32 v58, v70, v151
	v_fmac_f32_e32 v62, 0x3f737871, v69
	v_fmac_f32_e32 v63, 0xbf737871, v83
	v_add_f32_e32 v58, v58, v155
	v_fmac_f32_e32 v62, 0x3f167918, v68
	v_fmac_f32_e32 v63, 0xbf167918, v82
	v_add_f32_e32 v58, v58, v66
	v_fmac_f32_e32 v62, 0x3e9e377a, v59
	v_fmac_f32_e32 v63, 0x3e9e377a, v65
	v_add_u32_e32 v137, 0x2400, v135
	v_lshlrev_b32_e32 v81, 4, v119
	ds_write2_b64 v137, v[57:58], v[62:63] offset0:98 offset1:223
	v_add_co_u32_e32 v57, vcc, s10, v81
	v_fmac_f32_e32 v60, 0xbf737871, v69
	v_fmac_f32_e32 v61, 0x3f737871, v83
	v_addc_co_u32_e32 v58, vcc, 0, v80, vcc
	v_fmac_f32_e32 v60, 0xbf167918, v68
	v_fmac_f32_e32 v61, 0x3f167918, v82
	v_add_co_u32_e32 v57, vcc, s6, v57
	v_fmac_f32_e32 v60, 0x3e9e377a, v59
	v_fmac_f32_e32 v61, 0x3e9e377a, v65
	v_addc_co_u32_e32 v58, vcc, 0, v58, vcc
	ds_write_b64 v135, v[60:61] offset:14000
	s_waitcnt lgkmcnt(0)
	s_barrier
	global_load_dwordx4 v[60:63], v[57:58], off offset:864
	v_add_co_u32_e32 v56, vcc, s10, v56
	v_addc_co_u32_e32 v57, vcc, 0, v80, vcc
	v_add_co_u32_e32 v56, vcc, s6, v56
	v_addc_co_u32_e32 v57, vcc, 0, v57, vcc
	v_add_co_u32_e32 v64, vcc, s10, v64
	global_load_dwordx4 v[56:59], v[56:57], off offset:864
	v_addc_co_u32_e32 v65, vcc, 0, v80, vcc
	v_add_co_u32_e32 v64, vcc, s6, v64
	v_addc_co_u32_e32 v65, vcc, 0, v65, vcc
	global_load_dwordx4 v[64:67], v[64:65], off offset:864
	ds_read2_b64 v[140:143], v120 offset0:98 offset1:223
	ds_read2_b64 v[144:147], v124 offset0:110 offset1:235
	s_waitcnt vmcnt(2) lgkmcnt(1)
	v_mul_f32_e32 v68, v141, v63
	v_fma_f32 v149, v140, v62, -v68
	v_add_u32_e32 v68, 0x1770, v81
	v_add_co_u32_e32 v68, vcc, s10, v68
	v_addc_co_u32_e32 v69, vcc, 0, v80, vcc
	v_add_co_u32_e32 v68, vcc, s6, v68
	v_addc_co_u32_e32 v69, vcc, 0, v69, vcc
	v_add_u32_e32 v81, 0x1f40, v81
	v_add_co_u32_e32 v81, vcc, s10, v81
	v_addc_co_u32_e32 v82, vcc, 0, v80, vcc
	global_load_dwordx4 v[68:71], v[68:69], off offset:864
	v_add_co_u32_e32 v80, vcc, s6, v81
	v_addc_co_u32_e32 v81, vcc, 0, v82, vcc
	global_load_dwordx4 v[80:83], v[80:81], off offset:864
	v_mul_f32_e32 v140, v140, v63
	v_fmac_f32_e32 v140, v141, v62
	s_waitcnt vmcnt(3)
	v_mul_f32_e32 v141, v143, v59
	v_fma_f32 v163, v142, v58, -v141
	v_mul_f32_e32 v164, v142, v59
	s_waitcnt lgkmcnt(0)
	v_mul_f32_e32 v141, v145, v57
	v_fmac_f32_e32 v164, v143, v58
	v_fma_f32 v165, v144, v56, -v141
	v_mul_f32_e32 v166, v144, v57
	ds_read2_b64 v[141:144], v121 offset0:116 offset1:241
	v_fmac_f32_e32 v166, v145, v56
	s_waitcnt vmcnt(2)
	v_mul_f32_e32 v145, v147, v65
	v_mul_f32_e32 v168, v146, v65
	v_fma_f32 v167, v146, v64, -v145
	v_fmac_f32_e32 v168, v147, v64
	ds_read2_b64 v[145:148], v118 offset1:125
	s_waitcnt lgkmcnt(1)
	v_mul_f32_e32 v150, v144, v61
	v_fma_f32 v150, v143, v60, -v150
	v_mul_f32_e32 v143, v143, v61
	v_fmac_f32_e32 v143, v144, v60
	s_waitcnt lgkmcnt(0)
	v_add_f32_e32 v144, v145, v150
	v_add_f32_e32 v157, v144, v149
	;; [unrolled: 1-line block ×4, first 2 shown]
	v_sub_f32_e32 v169, v143, v140
	v_add_f32_e32 v140, v143, v140
	v_add_f32_e32 v143, v150, v149
	v_fma_f32 v160, -0.5, v140, v146
	v_fma_f32 v159, -0.5, v143, v145
	v_sub_f32_e32 v140, v150, v149
	v_mov_b32_e32 v162, v160
	v_mov_b32_e32 v161, v159
	v_fmac_f32_e32 v162, 0xbf5db3d7, v140
	ds_read2_b64 v[143:146], v125 offset0:122 offset1:247
	ds_read2_b64 v[149:152], v122 offset0:92 offset1:217
	;; [unrolled: 1-line block ×3, first 2 shown]
	v_fmac_f32_e32 v159, 0xbf5db3d7, v169
	v_fmac_f32_e32 v160, 0x3f5db3d7, v140
	v_add_f32_e32 v140, v147, v165
	ds_write_b64 v118, v[159:160] offset:10000
	v_add_f32_e32 v159, v140, v163
	v_add_f32_e32 v140, v148, v166
	;; [unrolled: 1-line block ×4, first 2 shown]
	v_fma_f32 v147, -0.5, v140, v147
	v_add_f32_e32 v140, v166, v164
	v_fmac_f32_e32 v148, -0.5, v140
	s_waitcnt lgkmcnt(2)
	v_mul_f32_e32 v140, v150, v67
	v_fmac_f32_e32 v161, 0x3f5db3d7, v169
	v_sub_f32_e32 v169, v166, v164
	v_sub_f32_e32 v163, v165, v163
	v_fma_f32 v164, v149, v66, -v140
	v_mul_f32_e32 v165, v149, v67
	v_fmac_f32_e32 v165, v150, v66
	v_add_f32_e32 v140, v167, v164
	v_fma_f32 v149, -0.5, v140, v143
	v_add_f32_e32 v140, v168, v165
	v_fma_f32 v150, -0.5, v140, v144
	v_sub_f32_e32 v166, v168, v165
	v_sub_f32_e32 v170, v167, v164
	ds_write_b64 v118, v[161:162] offset:5000
	ds_read_b64 v[161:162], v118 offset:14000
	ds_write2_b64 v118, v[157:158], v[159:160] offset1:125
	v_mov_b32_e32 v157, v147
	v_fmac_f32_e32 v147, 0xbf5db3d7, v169
	v_mov_b32_e32 v158, v148
	v_fmac_f32_e32 v148, 0x3f5db3d7, v163
	;; [unrolled: 2-line block ×4, first 2 shown]
	v_add_u32_e32 v140, 0x2800, v118
	ds_write2_b64 v140, v[147:148], v[149:150] offset0:95 offset1:220
	v_add_f32_e32 v143, v143, v167
	v_add_f32_e32 v144, v144, v168
	v_fmac_f32_e32 v157, 0x3f5db3d7, v169
	s_waitcnt vmcnt(1)
	v_mul_f32_e32 v147, v152, v71
	v_mul_f32_e32 v150, v151, v71
	v_fma_f32 v149, v151, v70, -v147
	v_fmac_f32_e32 v150, v152, v70
	s_waitcnt lgkmcnt(5)
	v_mul_f32_e32 v147, v154, v69
	v_mul_f32_e32 v152, v153, v69
	v_fma_f32 v151, v153, v68, -v147
	v_fmac_f32_e32 v152, v154, v68
	s_waitcnt vmcnt(0)
	v_mul_f32_e32 v147, v156, v81
	v_fma_f32 v153, v155, v80, -v147
	v_add_f32_e32 v147, v145, v151
	v_add_f32_e32 v148, v146, v152
	v_fmac_f32_e32 v158, 0xbf5db3d7, v163
	v_fmac_f32_e32 v159, 0x3f5db3d7, v166
	;; [unrolled: 1-line block ×3, first 2 shown]
	v_add_f32_e32 v143, v143, v164
	v_add_f32_e32 v144, v144, v165
	v_add_f32_e32 v147, v147, v149
	v_add_f32_e32 v148, v148, v150
	ds_write2_b64 v124, v[157:158], v[159:160] offset0:110 offset1:235
	ds_write2_b64 v125, v[143:144], v[147:148] offset0:122 offset1:247
	v_add_f32_e32 v143, v151, v149
	v_fma_f32 v145, -0.5, v143, v145
	v_add_f32_e32 v143, v152, v150
	v_sub_f32_e32 v147, v152, v150
	v_fmac_f32_e32 v146, -0.5, v143
	v_sub_f32_e32 v148, v151, v149
	v_mul_f32_e32 v154, v155, v81
	v_mov_b32_e32 v143, v145
	v_fmac_f32_e32 v145, 0xbf5db3d7, v147
	v_mov_b32_e32 v144, v146
	v_fmac_f32_e32 v146, 0x3f5db3d7, v148
	v_fmac_f32_e32 v154, v156, v80
	ds_write_b64 v118, v[145:146] offset:13000
	s_waitcnt lgkmcnt(5)
	v_mul_f32_e32 v145, v162, v83
	v_mul_f32_e32 v150, v161, v83
	v_fma_f32 v149, v161, v82, -v145
	v_fmac_f32_e32 v150, v162, v82
	v_add_f32_e32 v145, v141, v153
	v_add_f32_e32 v146, v142, v154
	v_add_f32_e32 v145, v145, v149
	v_add_f32_e32 v146, v146, v150
	ds_write_b64 v118, v[145:146] offset:4000
	v_add_f32_e32 v145, v153, v149
	v_fma_f32 v141, -0.5, v145, v141
	v_add_f32_e32 v145, v154, v150
	v_fmac_f32_e32 v142, -0.5, v145
	v_fmac_f32_e32 v143, 0x3f5db3d7, v147
	v_fmac_f32_e32 v144, 0xbf5db3d7, v148
	v_sub_f32_e32 v147, v154, v150
	v_sub_f32_e32 v148, v153, v149
	v_mov_b32_e32 v145, v141
	v_mov_b32_e32 v146, v142
	v_fmac_f32_e32 v145, 0x3f5db3d7, v147
	v_fmac_f32_e32 v146, 0xbf5db3d7, v148
	;; [unrolled: 1-line block ×4, first 2 shown]
	ds_write2_b64 v123, v[143:144], v[145:146] offset0:104 offset1:229
	ds_write_b64 v118, v[141:142] offset:14000
	s_waitcnt lgkmcnt(0)
	s_barrier
	global_load_dwordx2 v[115:116], v[115:116], off offset:2712
	s_movk_i32 s6, 0x3a98
	v_add_co_u32_e32 v141, vcc, s6, v131
	v_addc_co_u32_e32 v142, vcc, 0, v132, vcc
	global_load_dwordx2 v[149:150], v[141:142], off offset:1000
	s_movk_i32 s6, 0x5000
	v_add_co_u32_e32 v143, vcc, s6, v131
	v_addc_co_u32_e32 v144, vcc, 0, v132, vcc
	global_load_dwordx2 v[151:152], v[143:144], off offset:520
	global_load_dwordx2 v[153:154], v[143:144], off offset:1520
	s_movk_i32 s6, 0x6000
	v_add_co_u32_e32 v145, vcc, s6, v131
	v_addc_co_u32_e32 v146, vcc, 0, v132, vcc
	global_load_dwordx2 v[155:156], v[145:146], off offset:2424
	s_movk_i32 s6, 0x7000
	v_add_co_u32_e32 v147, vcc, s6, v131
	v_addc_co_u32_e32 v148, vcc, 0, v132, vcc
	global_load_dwordx2 v[157:158], v[147:148], off offset:328
	global_load_dwordx2 v[159:160], v[145:146], off offset:3424
	;; [unrolled: 1-line block ×6, first 2 shown]
	s_movk_i32 s6, 0x4000
	v_add_co_u32_e32 v131, vcc, s6, v131
	v_addc_co_u32_e32 v132, vcc, 0, v132, vcc
	global_load_dwordx2 v[131:132], v[131:132], off offset:3616
	s_nop 0
	global_load_dwordx2 v[169:170], v[143:144], off offset:3520
	global_load_dwordx2 v[171:172], v[145:146], off offset:424
	;; [unrolled: 1-line block ×3, first 2 shown]
	ds_read2_b64 v[141:144], v118 offset1:125
	s_waitcnt vmcnt(14) lgkmcnt(0)
	v_mul_f32_e32 v145, v142, v116
	v_fma_f32 v175, v141, v115, -v145
	ds_read2_b64 v[145:148], v124 offset0:110 offset1:235
	v_mul_f32_e32 v176, v141, v116
	v_fmac_f32_e32 v176, v142, v115
	s_waitcnt vmcnt(13)
	v_mul_f32_e32 v115, v144, v150
	v_mul_f32_e32 v116, v143, v150
	v_fma_f32 v115, v143, v149, -v115
	v_fmac_f32_e32 v116, v144, v149
	s_waitcnt vmcnt(12) lgkmcnt(0)
	v_mul_f32_e32 v141, v146, v152
	v_fma_f32 v149, v145, v151, -v141
	ds_read2_b64 v[141:144], v122 offset0:92 offset1:217
	v_mul_f32_e32 v150, v145, v152
	s_waitcnt vmcnt(11)
	v_mul_f32_e32 v145, v148, v154
	v_fmac_f32_e32 v150, v146, v151
	v_fma_f32 v151, v147, v153, -v145
	v_mul_f32_e32 v152, v147, v154
	s_waitcnt vmcnt(10) lgkmcnt(0)
	v_mul_f32_e32 v145, v142, v156
	v_fmac_f32_e32 v152, v148, v153
	v_fma_f32 v153, v141, v155, -v145
	ds_read2_b64 v[145:148], v125 offset0:122 offset1:247
	v_mul_f32_e32 v154, v141, v156
	s_waitcnt vmcnt(8)
	v_mul_f32_e32 v141, v144, v160
	v_fmac_f32_e32 v154, v142, v155
	v_fma_f32 v155, v143, v159, -v141
	v_mul_f32_e32 v156, v143, v160
	s_waitcnt vmcnt(7) lgkmcnt(0)
	v_mul_f32_e32 v141, v148, v162
	v_fmac_f32_e32 v156, v144, v159
	;; [unrolled: 11-line block ×3, first 2 shown]
	v_fma_f32 v163, v141, v167, -v145
	ds_read2_b64 v[145:148], v123 offset0:104 offset1:229
	v_mul_f32_e32 v164, v141, v168
	s_waitcnt vmcnt(3)
	v_mul_f32_e32 v141, v144, v132
	v_mul_f32_e32 v168, v143, v132
	v_fmac_f32_e32 v164, v142, v167
	v_fma_f32 v167, v143, v131, -v141
	v_fmac_f32_e32 v168, v144, v131
	ds_read2_b64 v[141:144], v120 offset0:98 offset1:223
	ds_write2_b64 v118, v[175:176], v[115:116] offset1:125
	ds_write2_b64 v124, v[149:150], v[151:152] offset0:110 offset1:235
	ds_write2_b64 v122, v[153:154], v[155:156] offset0:92 offset1:217
	ds_read_b64 v[115:116], v118 offset:14000
	s_waitcnt vmcnt(2) lgkmcnt(5)
	v_mul_f32_e32 v131, v148, v170
	v_mul_f32_e32 v132, v147, v170
	v_fma_f32 v131, v147, v169, -v131
	v_fmac_f32_e32 v132, v148, v169
	v_mul_f32_e32 v147, v146, v166
	v_mul_f32_e32 v148, v145, v166
	v_fma_f32 v147, v145, v165, -v147
	v_fmac_f32_e32 v148, v146, v165
	s_waitcnt vmcnt(1) lgkmcnt(4)
	v_mul_f32_e32 v145, v142, v172
	v_mul_f32_e32 v146, v141, v172
	v_fma_f32 v145, v141, v171, -v145
	v_fmac_f32_e32 v146, v142, v171
	s_waitcnt vmcnt(0)
	v_mul_f32_e32 v141, v144, v174
	v_mul_f32_e32 v142, v143, v174
	v_fma_f32 v141, v143, v173, -v141
	v_fmac_f32_e32 v142, v144, v173
	ds_write2_b64 v125, v[161:162], v[159:160] offset0:122 offset1:247
	ds_write2_b64 v121, v[163:164], v[167:168] offset0:116 offset1:241
	ds_write2_b64 v123, v[147:148], v[131:132] offset0:104 offset1:229
	ds_write2_b64 v120, v[145:146], v[141:142] offset0:98 offset1:223
	s_waitcnt lgkmcnt(4)
	v_mul_f32_e32 v131, v116, v158
	v_mul_f32_e32 v132, v115, v158
	v_fma_f32 v131, v115, v157, -v131
	v_fmac_f32_e32 v132, v116, v157
	ds_write_b64 v118, v[131:132] offset:14000
	s_waitcnt lgkmcnt(0)
	s_barrier
	ds_read2_b64 v[141:144], v125 offset0:122 offset1:247
	ds_read2_b64 v[145:148], v124 offset0:110 offset1:235
	;; [unrolled: 1-line block ×4, first 2 shown]
	ds_read2_b64 v[157:160], v118 offset1:125
	s_waitcnt lgkmcnt(3)
	v_sub_f32_e32 v115, v143, v145
	s_waitcnt lgkmcnt(2)
	v_add_f32_e32 v131, v145, v151
	v_add_f32_e32 v132, v146, v152
	s_waitcnt lgkmcnt(1)
	v_sub_f32_e32 v116, v153, v151
	s_waitcnt lgkmcnt(0)
	v_fma_f32 v131, -0.5, v131, v157
	v_fma_f32 v132, -0.5, v132, v158
	v_add_f32_e32 v173, v115, v116
	v_add_f32_e32 v115, v157, v143
	v_add_f32_e32 v116, v158, v144
	v_sub_f32_e32 v175, v144, v154
	v_mov_b32_e32 v169, v131
	v_mov_b32_e32 v170, v132
	v_sub_f32_e32 v177, v143, v153
	v_add_f32_e32 v115, v115, v145
	v_add_f32_e32 v116, v116, v146
	v_sub_f32_e32 v161, v144, v146
	v_sub_f32_e32 v162, v154, v152
	v_fmac_f32_e32 v169, 0xbf737871, v175
	v_sub_f32_e32 v176, v146, v152
	v_fmac_f32_e32 v170, 0x3f737871, v177
	v_sub_f32_e32 v178, v145, v151
	v_add_f32_e32 v115, v115, v151
	v_add_f32_e32 v116, v116, v152
	;; [unrolled: 1-line block ×3, first 2 shown]
	v_fmac_f32_e32 v169, 0xbf167918, v176
	v_fmac_f32_e32 v170, 0x3f167918, v178
	v_add_f32_e32 v115, v115, v153
	v_add_f32_e32 v116, v116, v154
	v_fmac_f32_e32 v169, 0x3e9e377a, v173
	v_fmac_f32_e32 v170, 0x3e9e377a, v174
	ds_read_b64 v[171:172], v118 offset:14000
	ds_read2_b64 v[161:164], v121 offset0:116 offset1:241
	ds_read2_b64 v[165:168], v120 offset0:98 offset1:223
	s_waitcnt lgkmcnt(0)
	s_barrier
	ds_write2_b64 v139, v[115:116], v[169:170] offset1:1
	v_sub_f32_e32 v115, v145, v143
	v_sub_f32_e32 v116, v151, v153
	v_add_f32_e32 v116, v115, v116
	v_add_f32_e32 v115, v143, v153
	v_fma_f32 v115, -0.5, v115, v157
	v_mov_b32_e32 v143, v115
	v_fmac_f32_e32 v143, 0x3f737871, v176
	v_fmac_f32_e32 v115, 0xbf737871, v176
	;; [unrolled: 1-line block ×6, first 2 shown]
	v_add_f32_e32 v116, v144, v154
	v_fma_f32 v116, -0.5, v116, v158
	v_sub_f32_e32 v144, v146, v144
	v_sub_f32_e32 v145, v152, v154
	v_add_f32_e32 v145, v144, v145
	v_mov_b32_e32 v144, v116
	v_fmac_f32_e32 v144, 0xbf737871, v178
	v_fmac_f32_e32 v116, 0x3f737871, v178
	;; [unrolled: 1-line block ×10, first 2 shown]
	ds_write2_b64 v139, v[143:144], v[115:116] offset0:2 offset1:3
	v_fmac_f32_e32 v131, 0x3e9e377a, v173
	v_fmac_f32_e32 v132, 0x3e9e377a, v174
	v_add_f32_e32 v115, v147, v165
	v_add_f32_e32 v116, v161, v155
	ds_write_b64 v139, v[131:132] offset:32
	v_add_f32_e32 v139, v159, v161
	v_fma_f32 v115, -0.5, v115, v159
	v_fma_f32 v159, -0.5, v116, v159
	v_sub_f32_e32 v116, v147, v161
	v_sub_f32_e32 v131, v165, v155
	v_add_f32_e32 v116, v116, v131
	v_sub_f32_e32 v145, v148, v166
	v_mov_b32_e32 v131, v159
	v_fmac_f32_e32 v131, 0x3f737871, v145
	v_sub_f32_e32 v146, v162, v156
	v_fmac_f32_e32 v159, 0xbf737871, v145
	v_fmac_f32_e32 v131, 0xbf167918, v146
	;; [unrolled: 1-line block ×5, first 2 shown]
	v_add_f32_e32 v116, v148, v166
	v_add_f32_e32 v132, v162, v156
	v_fma_f32 v116, -0.5, v116, v160
	v_add_f32_e32 v143, v160, v162
	v_fmac_f32_e32 v160, -0.5, v132
	v_sub_f32_e32 v132, v148, v162
	v_sub_f32_e32 v144, v166, v156
	v_add_f32_e32 v144, v132, v144
	v_mov_b32_e32 v132, v160
	v_sub_f32_e32 v151, v147, v165
	v_fmac_f32_e32 v132, 0xbf737871, v151
	v_sub_f32_e32 v152, v161, v155
	v_fmac_f32_e32 v160, 0x3f737871, v151
	v_fmac_f32_e32 v132, 0x3f167918, v152
	;; [unrolled: 1-line block ×5, first 2 shown]
	ds_write2_b64 v134, v[131:132], v[159:160] offset0:2 offset1:3
	v_add_f32_e32 v131, v139, v147
	v_add_f32_e32 v132, v143, v148
	v_sub_f32_e32 v139, v161, v147
	v_sub_f32_e32 v143, v162, v148
	;; [unrolled: 1-line block ×4, first 2 shown]
	v_add_f32_e32 v139, v139, v144
	v_add_f32_e32 v147, v143, v147
	v_mov_b32_e32 v143, v115
	v_mov_b32_e32 v144, v116
	v_fmac_f32_e32 v143, 0xbf737871, v146
	v_fmac_f32_e32 v144, 0x3f737871, v152
	v_add_f32_e32 v131, v131, v165
	v_add_f32_e32 v132, v132, v166
	v_fmac_f32_e32 v143, 0xbf167918, v145
	v_fmac_f32_e32 v144, 0x3f167918, v151
	;; [unrolled: 1-line block ×4, first 2 shown]
	v_add_f32_e32 v131, v131, v155
	v_add_f32_e32 v132, v132, v156
	v_fmac_f32_e32 v143, 0x3e9e377a, v139
	v_fmac_f32_e32 v144, 0x3e9e377a, v147
	;; [unrolled: 1-line block ×4, first 2 shown]
	ds_write2_b64 v134, v[131:132], v[143:144] offset1:1
	v_add_f32_e32 v143, v149, v167
	v_add_f32_e32 v154, v150, v168
	v_fmac_f32_e32 v115, 0x3e9e377a, v139
	v_fmac_f32_e32 v116, 0x3e9e377a, v147
	v_sub_f32_e32 v144, v163, v149
	v_sub_f32_e32 v160, v171, v167
	ds_write_b64 v134, v[115:116] offset:32
	v_fma_f32 v115, -0.5, v143, v141
	v_fma_f32 v116, -0.5, v154, v142
	v_add_f32_e32 v131, v141, v163
	v_add_f32_e32 v132, v142, v164
	v_sub_f32_e32 v156, v164, v172
	v_sub_f32_e32 v158, v163, v171
	v_add_f32_e32 v134, v144, v160
	v_mov_b32_e32 v143, v115
	v_mov_b32_e32 v144, v116
	v_add_f32_e32 v131, v131, v149
	v_add_f32_e32 v132, v132, v150
	v_sub_f32_e32 v148, v150, v168
	v_sub_f32_e32 v153, v149, v163
	;; [unrolled: 1-line block ×5, first 2 shown]
	v_fmac_f32_e32 v143, 0xbf737871, v156
	v_fmac_f32_e32 v144, 0x3f737871, v158
	v_add_f32_e32 v157, v163, v171
	v_add_f32_e32 v159, v164, v172
	;; [unrolled: 1-line block ×5, first 2 shown]
	v_fmac_f32_e32 v143, 0xbf167918, v148
	v_fmac_f32_e32 v144, 0x3f167918, v149
	v_add_f32_e32 v131, v131, v171
	v_add_f32_e32 v132, v132, v172
	v_fmac_f32_e32 v143, 0x3e9e377a, v134
	v_fmac_f32_e32 v144, 0x3e9e377a, v139
	v_fmac_f32_e32 v142, -0.5, v159
	v_fma_f32 v141, -0.5, v157, v141
	ds_write2_b64 v133, v[131:132], v[143:144] offset1:1
	v_mov_b32_e32 v132, v142
	v_mov_b32_e32 v131, v141
	v_sub_f32_e32 v150, v150, v164
	v_sub_f32_e32 v161, v167, v171
	;; [unrolled: 1-line block ×3, first 2 shown]
	v_fmac_f32_e32 v142, 0x3f737871, v149
	v_fmac_f32_e32 v131, 0x3f737871, v148
	;; [unrolled: 1-line block ×6, first 2 shown]
	v_add_f32_e32 v143, v150, v163
	v_fmac_f32_e32 v142, 0xbf167918, v158
	v_add_f32_e32 v144, v153, v161
	v_fmac_f32_e32 v131, 0xbf167918, v156
	v_fmac_f32_e32 v141, 0x3f167918, v156
	;; [unrolled: 1-line block ×11, first 2 shown]
	ds_write2_b64 v133, v[131:132], v[141:142] offset0:2 offset1:3
	ds_write_b64 v133, v[115:116] offset:32
	s_waitcnt lgkmcnt(0)
	s_barrier
	ds_read_b64 v[115:116], v118 offset:14000
	ds_read2_b64 v[131:134], v120 offset0:98 offset1:223
	s_waitcnt lgkmcnt(1)
	v_mul_f32_e32 v139, v55, v116
	v_mul_f32_e32 v55, v55, v115
	v_fmac_f32_e32 v139, v54, v115
	v_fma_f32 v115, v54, v116, -v55
	s_waitcnt lgkmcnt(0)
	v_mul_f32_e32 v116, v53, v134
	v_mul_f32_e32 v53, v53, v133
	v_fmac_f32_e32 v116, v52, v133
	v_fma_f32 v133, v52, v134, -v53
	ds_read2_b64 v[52:55], v122 offset0:92 offset1:217
	v_mul_f32_e32 v134, v45, v132
	v_mul_f32_e32 v45, v45, v131
	v_fmac_f32_e32 v134, v44, v131
	v_fma_f32 v131, v44, v132, -v45
	s_waitcnt lgkmcnt(0)
	v_mul_f32_e32 v132, v47, v55
	v_mul_f32_e32 v44, v47, v54
	v_fmac_f32_e32 v132, v46, v54
	v_fma_f32 v54, v46, v55, -v44
	ds_read2_b64 v[44:47], v123 offset0:104 offset1:229
	;; [unrolled: 10-line block ×3, first 2 shown]
	v_mul_f32_e32 v142, v51, v45
	v_fmac_f32_e32 v142, v50, v44
	v_mul_f32_e32 v44, v51, v44
	v_fma_f32 v50, v50, v45, -v44
	ds_read2_b64 v[44:47], v124 offset0:110 offset1:235
	s_waitcnt lgkmcnt(1)
	v_mul_f32_e32 v51, v49, v39
	v_fmac_f32_e32 v51, v48, v38
	v_mul_f32_e32 v38, v49, v38
	v_mul_f32_e32 v49, v41, v37
	v_fmac_f32_e32 v49, v40, v36
	v_mul_f32_e32 v36, v41, v36
	v_fma_f32 v143, v40, v37, -v36
	s_waitcnt lgkmcnt(0)
	v_mul_f32_e32 v144, v43, v47
	v_mul_f32_e32 v36, v43, v46
	v_fma_f32 v48, v48, v39, -v38
	v_fmac_f32_e32 v144, v42, v46
	v_fma_f32 v46, v42, v47, -v36
	ds_read2_b64 v[36:39], v125 offset0:122 offset1:247
	ds_read2_b64 v[40:43], v118 offset1:125
	v_mul_f32_e32 v47, v23, v45
	v_mul_f32_e32 v23, v23, v44
	v_fmac_f32_e32 v47, v22, v44
	v_fma_f32 v44, v22, v45, -v23
	s_waitcnt lgkmcnt(1)
	v_mul_f32_e32 v45, v21, v39
	v_mul_f32_e32 v21, v21, v38
	v_fmac_f32_e32 v45, v20, v38
	v_fma_f32 v145, v20, v39, -v21
	v_add_f32_e32 v22, v47, v53
	v_add_f32_e32 v23, v44, v141
	v_sub_f32_e32 v20, v45, v47
	v_sub_f32_e32 v21, v55, v53
	s_waitcnt lgkmcnt(0)
	v_fma_f32 v22, -0.5, v22, v40
	v_fma_f32 v23, -0.5, v23, v41
	v_sub_f32_e32 v38, v145, v44
	v_sub_f32_e32 v39, v52, v141
	v_add_f32_e32 v146, v20, v21
	v_add_f32_e32 v20, v40, v45
	;; [unrolled: 1-line block ×4, first 2 shown]
	v_sub_f32_e32 v148, v145, v52
	v_mov_b32_e32 v38, v22
	v_mov_b32_e32 v39, v23
	v_sub_f32_e32 v150, v45, v55
	v_add_f32_e32 v20, v20, v47
	v_add_f32_e32 v21, v21, v44
	v_fmac_f32_e32 v38, 0xbf737871, v148
	v_sub_f32_e32 v149, v44, v141
	v_fmac_f32_e32 v39, 0x3f737871, v150
	v_sub_f32_e32 v151, v47, v53
	v_add_f32_e32 v20, v20, v53
	v_add_f32_e32 v21, v21, v141
	v_fmac_f32_e32 v38, 0xbf167918, v149
	v_fmac_f32_e32 v39, 0x3f167918, v151
	v_add_f32_e32 v20, v20, v55
	v_add_f32_e32 v21, v21, v52
	v_fmac_f32_e32 v38, 0x3e9e377a, v146
	v_fmac_f32_e32 v39, 0x3e9e377a, v147
	s_barrier
	ds_write2_b64 v138, v[20:21], v[38:39] offset1:5
	v_sub_f32_e32 v20, v47, v45
	v_add_f32_e32 v21, v45, v55
	v_sub_f32_e32 v38, v53, v55
	v_add_f32_e32 v39, v20, v38
	v_fma_f32 v20, -0.5, v21, v40
	v_mov_b32_e32 v38, v20
	v_fmac_f32_e32 v38, 0x3f737871, v149
	v_fmac_f32_e32 v20, 0xbf737871, v149
	;; [unrolled: 1-line block ×4, first 2 shown]
	v_add_f32_e32 v21, v145, v52
	v_fmac_f32_e32 v38, 0x3e9e377a, v39
	v_fmac_f32_e32 v20, 0x3e9e377a, v39
	v_fma_f32 v21, -0.5, v21, v41
	v_sub_f32_e32 v39, v44, v145
	v_sub_f32_e32 v40, v141, v52
	v_add_f32_e32 v40, v39, v40
	v_mov_b32_e32 v39, v21
	v_fmac_f32_e32 v39, 0xbf737871, v151
	v_fmac_f32_e32 v21, 0x3f737871, v151
	;; [unrolled: 1-line block ×10, first 2 shown]
	ds_write2_b64 v138, v[38:39], v[20:21] offset0:10 offset1:15
	v_fmac_f32_e32 v22, 0x3e9e377a, v146
	v_fmac_f32_e32 v23, 0x3e9e377a, v147
	v_add_f32_e32 v20, v144, v134
	v_add_f32_e32 v21, v49, v132
	ds_write_b64 v138, v[22:23] offset:160
	v_add_f32_e32 v38, v42, v49
	v_fma_f32 v20, -0.5, v20, v42
	v_fma_f32 v42, -0.5, v21, v42
	v_sub_f32_e32 v21, v144, v49
	v_sub_f32_e32 v22, v134, v132
	v_add_f32_e32 v21, v21, v22
	v_sub_f32_e32 v40, v46, v131
	v_mov_b32_e32 v22, v42
	v_fmac_f32_e32 v22, 0x3f737871, v40
	v_sub_f32_e32 v41, v143, v54
	v_fmac_f32_e32 v42, 0xbf737871, v40
	v_fmac_f32_e32 v22, 0xbf167918, v41
	;; [unrolled: 1-line block ×5, first 2 shown]
	v_add_f32_e32 v21, v46, v131
	v_add_f32_e32 v23, v143, v54
	v_fma_f32 v21, -0.5, v21, v43
	v_add_f32_e32 v39, v43, v143
	v_fmac_f32_e32 v43, -0.5, v23
	v_sub_f32_e32 v23, v46, v143
	v_sub_f32_e32 v44, v131, v54
	v_add_f32_e32 v44, v23, v44
	v_mov_b32_e32 v23, v43
	v_sub_f32_e32 v45, v144, v134
	v_fmac_f32_e32 v23, 0xbf737871, v45
	v_sub_f32_e32 v47, v49, v132
	v_fmac_f32_e32 v43, 0x3f737871, v45
	v_fmac_f32_e32 v23, 0x3f167918, v47
	;; [unrolled: 1-line block ×5, first 2 shown]
	ds_write2_b64 v130, v[22:23], v[42:43] offset0:10 offset1:15
	v_add_f32_e32 v22, v38, v144
	v_sub_f32_e32 v23, v49, v144
	v_sub_f32_e32 v38, v132, v134
	v_add_f32_e32 v42, v23, v38
	v_add_f32_e32 v23, v39, v46
	v_sub_f32_e32 v38, v143, v46
	v_sub_f32_e32 v39, v54, v131
	v_add_f32_e32 v43, v38, v39
	v_mov_b32_e32 v38, v20
	v_mov_b32_e32 v39, v21
	v_fmac_f32_e32 v38, 0xbf737871, v41
	v_fmac_f32_e32 v39, 0x3f737871, v47
	v_add_f32_e32 v22, v22, v134
	v_add_f32_e32 v23, v23, v131
	v_fmac_f32_e32 v38, 0xbf167918, v40
	v_fmac_f32_e32 v39, 0x3f167918, v45
	v_add_f32_e32 v22, v22, v132
	v_add_f32_e32 v23, v23, v54
	v_fmac_f32_e32 v38, 0x3e9e377a, v42
	v_fmac_f32_e32 v39, 0x3e9e377a, v43
	ds_write2_b64 v130, v[22:23], v[38:39] offset1:5
	v_sub_f32_e32 v22, v51, v142
	v_sub_f32_e32 v23, v139, v116
	v_add_f32_e32 v23, v22, v23
	v_add_f32_e32 v22, v142, v116
	v_fma_f32 v22, -0.5, v22, v36
	v_sub_f32_e32 v39, v48, v115
	v_mov_b32_e32 v38, v22
	v_fmac_f32_e32 v20, 0x3f737871, v41
	v_fmac_f32_e32 v38, 0xbf737871, v39
	v_sub_f32_e32 v41, v50, v133
	v_fmac_f32_e32 v22, 0x3f737871, v39
	v_fmac_f32_e32 v20, 0x3f167918, v40
	;; [unrolled: 1-line block ×4, first 2 shown]
	v_add_f32_e32 v40, v51, v139
	v_fmac_f32_e32 v20, 0x3e9e377a, v42
	v_fmac_f32_e32 v38, 0x3e9e377a, v23
	;; [unrolled: 1-line block ×3, first 2 shown]
	v_add_f32_e32 v23, v36, v51
	v_fma_f32 v36, -0.5, v40, v36
	v_sub_f32_e32 v40, v142, v51
	v_sub_f32_e32 v42, v116, v139
	v_add_f32_e32 v42, v40, v42
	v_mov_b32_e32 v40, v36
	v_fmac_f32_e32 v40, 0x3f737871, v41
	v_fmac_f32_e32 v36, 0xbf737871, v41
	;; [unrolled: 1-line block ×4, first 2 shown]
	v_add_f32_e32 v23, v23, v142
	v_add_f32_e32 v39, v37, v48
	v_fmac_f32_e32 v21, 0xbf737871, v47
	v_add_f32_e32 v23, v23, v116
	v_add_f32_e32 v39, v39, v50
	v_fmac_f32_e32 v21, 0xbf167918, v45
	v_fmac_f32_e32 v40, 0x3e9e377a, v42
	v_fmac_f32_e32 v36, 0x3e9e377a, v42
	v_add_f32_e32 v39, v39, v133
	v_add_f32_e32 v42, v23, v139
	;; [unrolled: 1-line block ×3, first 2 shown]
	v_fmac_f32_e32 v21, 0x3e9e377a, v43
	v_add_f32_e32 v43, v39, v115
	v_fma_f32 v23, -0.5, v23, v37
	v_sub_f32_e32 v39, v48, v50
	v_sub_f32_e32 v41, v115, v133
	;; [unrolled: 1-line block ×3, first 2 shown]
	v_add_f32_e32 v41, v39, v41
	v_mov_b32_e32 v39, v23
	v_sub_f32_e32 v45, v142, v116
	v_fmac_f32_e32 v39, 0x3f737871, v44
	v_fmac_f32_e32 v23, 0xbf737871, v44
	;; [unrolled: 1-line block ×6, first 2 shown]
	v_add_f32_e32 v41, v48, v115
	v_fmac_f32_e32 v37, -0.5, v41
	v_sub_f32_e32 v41, v50, v48
	v_sub_f32_e32 v46, v133, v115
	v_add_f32_e32 v46, v41, v46
	v_mov_b32_e32 v41, v37
	v_fmac_f32_e32 v41, 0xbf737871, v45
	v_fmac_f32_e32 v37, 0x3f737871, v45
	;; [unrolled: 1-line block ×6, first 2 shown]
	ds_write_b64 v130, v[20:21] offset:160
	ds_write2_b64 v129, v[42:43], v[38:39] offset1:5
	ds_write2_b64 v129, v[40:41], v[36:37] offset0:10 offset1:15
	ds_write_b64 v129, v[22:23] offset:160
	s_waitcnt lgkmcnt(0)
	s_barrier
	ds_read2_b64 v[20:23], v125 offset0:122 offset1:247
	ds_read2_b64 v[36:39], v124 offset0:110 offset1:235
	;; [unrolled: 1-line block ×3, first 2 shown]
	s_waitcnt lgkmcnt(2)
	v_mul_f32_e32 v44, v29, v23
	v_fmac_f32_e32 v44, v28, v22
	v_mul_f32_e32 v22, v29, v22
	v_fma_f32 v45, v28, v23, -v22
	s_waitcnt lgkmcnt(1)
	v_mul_f32_e32 v23, v31, v37
	v_mul_f32_e32 v22, v31, v36
	v_fmac_f32_e32 v23, v30, v36
	v_fma_f32 v36, v30, v37, -v22
	ds_read2_b64 v[28:31], v123 offset0:104 offset1:229
	v_mul_f32_e32 v22, v35, v38
	v_fma_f32 v46, v34, v39, -v22
	s_waitcnt lgkmcnt(1)
	v_mul_f32_e32 v47, v33, v41
	v_mul_f32_e32 v22, v33, v40
	;; [unrolled: 1-line block ×3, first 2 shown]
	v_fmac_f32_e32 v47, v32, v40
	v_fma_f32 v40, v32, v41, -v22
	v_mul_f32_e32 v22, v77, v42
	v_fmac_f32_e32 v37, v34, v38
	v_mul_f32_e32 v48, v77, v43
	v_fma_f32 v49, v76, v43, -v22
	ds_read2_b64 v[32:35], v122 offset0:92 offset1:217
	s_waitcnt lgkmcnt(1)
	v_mul_f32_e32 v43, v79, v29
	v_mul_f32_e32 v22, v79, v28
	;; [unrolled: 1-line block ×4, first 2 shown]
	v_fmac_f32_e32 v43, v78, v28
	v_fma_f32 v50, v78, v29, -v22
	v_fmac_f32_e32 v38, v12, v30
	v_fma_f32 v39, v12, v31, -v13
	ds_read2_b64 v[28:31], v120 offset0:98 offset1:223
	s_waitcnt lgkmcnt(1)
	v_mul_f32_e32 v51, v11, v35
	v_mul_f32_e32 v11, v11, v34
	v_fma_f32 v52, v10, v35, -v11
	v_mul_f32_e32 v12, v15, v32
	s_waitcnt lgkmcnt(0)
	v_mul_f32_e32 v35, v9, v29
	v_mul_f32_e32 v9, v9, v28
	v_fmac_f32_e32 v35, v8, v28
	v_fma_f32 v53, v8, v29, -v9
	ds_read_b64 v[8:9], v118 offset:14000
	v_fmac_f32_e32 v48, v76, v42
	v_mul_f32_e32 v41, v15, v33
	v_fma_f32 v42, v14, v33, -v12
	v_fmac_f32_e32 v51, v10, v34
	ds_read2_b64 v[10:13], v118 offset1:125
	v_fmac_f32_e32 v41, v14, v32
	v_mul_f32_e32 v54, v73, v31
	v_mul_f32_e32 v14, v73, v30
	v_fmac_f32_e32 v54, v72, v30
	v_fma_f32 v55, v72, v31, -v14
	s_waitcnt lgkmcnt(1)
	v_mul_f32_e32 v72, v75, v9
	v_fmac_f32_e32 v72, v74, v8
	v_mul_f32_e32 v8, v75, v8
	v_fma_f32 v8, v74, v9, -v8
	v_add_f32_e32 v9, v23, v38
	s_waitcnt lgkmcnt(0)
	v_fma_f32 v14, -0.5, v9, v10
	v_sub_f32_e32 v9, v45, v42
	v_mov_b32_e32 v30, v14
	v_fmac_f32_e32 v30, 0xbf737871, v9
	v_sub_f32_e32 v15, v36, v39
	v_sub_f32_e32 v22, v44, v23
	;; [unrolled: 1-line block ×3, first 2 shown]
	v_fmac_f32_e32 v14, 0x3f737871, v9
	v_fmac_f32_e32 v30, 0xbf167918, v15
	v_add_f32_e32 v22, v22, v28
	v_fmac_f32_e32 v14, 0x3f167918, v15
	v_fmac_f32_e32 v30, 0x3e9e377a, v22
	;; [unrolled: 1-line block ×3, first 2 shown]
	v_sub_f32_e32 v22, v23, v44
	v_sub_f32_e32 v28, v38, v41
	v_add_f32_e32 v29, v22, v28
	v_add_f32_e32 v22, v44, v41
	v_fma_f32 v22, -0.5, v22, v10
	v_mov_b32_e32 v28, v22
	v_fmac_f32_e32 v28, 0x3f737871, v15
	v_fmac_f32_e32 v22, 0xbf737871, v15
	v_fmac_f32_e32 v28, 0xbf167918, v9
	v_fmac_f32_e32 v22, 0x3f167918, v9
	v_add_f32_e32 v9, v10, v44
	v_add_f32_e32 v9, v9, v23
	;; [unrolled: 1-line block ×7, first 2 shown]
	v_fma_f32 v15, -0.5, v9, v11
	v_add_f32_e32 v10, v10, v39
	v_sub_f32_e32 v9, v44, v41
	v_mov_b32_e32 v31, v15
	v_fmac_f32_e32 v28, 0x3e9e377a, v29
	v_fmac_f32_e32 v22, 0x3e9e377a, v29
	v_add_f32_e32 v33, v10, v42
	v_sub_f32_e32 v10, v23, v38
	v_sub_f32_e32 v23, v45, v36
	;; [unrolled: 1-line block ×3, first 2 shown]
	v_fmac_f32_e32 v31, 0x3f737871, v9
	v_fmac_f32_e32 v15, 0xbf737871, v9
	v_add_f32_e32 v23, v23, v29
	v_fmac_f32_e32 v31, 0x3f167918, v10
	v_fmac_f32_e32 v15, 0xbf167918, v10
	;; [unrolled: 1-line block ×4, first 2 shown]
	v_add_f32_e32 v23, v45, v42
	v_fma_f32 v23, -0.5, v23, v11
	v_mov_b32_e32 v29, v23
	v_fmac_f32_e32 v29, 0xbf737871, v10
	v_sub_f32_e32 v11, v36, v45
	v_sub_f32_e32 v34, v39, v42
	v_fmac_f32_e32 v23, 0x3f737871, v10
	v_fmac_f32_e32 v29, 0x3f167918, v9
	v_add_f32_e32 v11, v11, v34
	v_fmac_f32_e32 v23, 0xbf167918, v9
	v_add_f32_e32 v9, v37, v35
	v_fmac_f32_e32 v29, 0x3e9e377a, v11
	v_fmac_f32_e32 v23, 0x3e9e377a, v11
	v_fma_f32 v10, -0.5, v9, v12
	v_sub_f32_e32 v11, v47, v37
	v_sub_f32_e32 v34, v51, v35
	;; [unrolled: 1-line block ×3, first 2 shown]
	v_add_f32_e32 v11, v11, v34
	v_mov_b32_e32 v34, v10
	v_fmac_f32_e32 v34, 0xbf737871, v9
	v_sub_f32_e32 v38, v46, v53
	v_fmac_f32_e32 v10, 0x3f737871, v9
	v_fmac_f32_e32 v34, 0xbf167918, v38
	;; [unrolled: 1-line block ×3, first 2 shown]
	v_add_f32_e32 v36, v47, v51
	v_fmac_f32_e32 v34, 0x3e9e377a, v11
	v_fmac_f32_e32 v10, 0x3e9e377a, v11
	v_add_f32_e32 v11, v12, v47
	v_fma_f32 v12, -0.5, v36, v12
	v_sub_f32_e32 v36, v37, v47
	v_sub_f32_e32 v39, v35, v51
	v_add_f32_e32 v39, v36, v39
	v_mov_b32_e32 v36, v12
	v_fmac_f32_e32 v36, 0x3f737871, v38
	v_fmac_f32_e32 v12, 0xbf737871, v38
	;; [unrolled: 1-line block ×4, first 2 shown]
	v_add_f32_e32 v9, v11, v37
	v_add_f32_e32 v11, v13, v40
	;; [unrolled: 1-line block ×7, first 2 shown]
	v_fmac_f32_e32 v36, 0x3e9e377a, v39
	v_fmac_f32_e32 v12, 0x3e9e377a, v39
	v_add_f32_e32 v39, v11, v52
	v_fma_f32 v11, -0.5, v9, v13
	v_sub_f32_e32 v41, v37, v35
	v_sub_f32_e32 v35, v40, v46
	;; [unrolled: 1-line block ×4, first 2 shown]
	v_add_f32_e32 v37, v35, v37
	v_mov_b32_e32 v35, v11
	v_fmac_f32_e32 v35, 0x3f737871, v9
	v_fmac_f32_e32 v11, 0xbf737871, v9
	;; [unrolled: 1-line block ×6, first 2 shown]
	v_add_f32_e32 v37, v40, v52
	v_fmac_f32_e32 v13, -0.5, v37
	v_mov_b32_e32 v37, v13
	v_fmac_f32_e32 v37, 0xbf737871, v41
	v_sub_f32_e32 v40, v46, v40
	v_sub_f32_e32 v42, v53, v52
	v_fmac_f32_e32 v13, 0x3f737871, v41
	v_fmac_f32_e32 v37, 0x3f167918, v9
	v_add_f32_e32 v40, v40, v42
	v_fmac_f32_e32 v13, 0xbf167918, v9
	v_add_f32_e32 v9, v43, v54
	v_fmac_f32_e32 v37, 0x3e9e377a, v40
	v_fmac_f32_e32 v13, 0x3e9e377a, v40
	v_fma_f32 v40, -0.5, v9, v20
	v_sub_f32_e32 v41, v48, v43
	v_sub_f32_e32 v42, v72, v54
	;; [unrolled: 1-line block ×3, first 2 shown]
	v_add_f32_e32 v41, v41, v42
	v_mov_b32_e32 v42, v40
	v_fmac_f32_e32 v42, 0xbf737871, v9
	v_sub_f32_e32 v45, v50, v55
	v_fmac_f32_e32 v40, 0x3f737871, v9
	v_fmac_f32_e32 v42, 0xbf167918, v45
	;; [unrolled: 1-line block ×3, first 2 shown]
	v_add_f32_e32 v44, v48, v72
	v_fmac_f32_e32 v42, 0x3e9e377a, v41
	v_fmac_f32_e32 v40, 0x3e9e377a, v41
	v_add_f32_e32 v41, v20, v48
	v_fma_f32 v20, -0.5, v44, v20
	v_sub_f32_e32 v44, v43, v48
	v_sub_f32_e32 v46, v54, v72
	v_add_f32_e32 v46, v44, v46
	v_mov_b32_e32 v44, v20
	v_fmac_f32_e32 v44, 0x3f737871, v45
	v_fmac_f32_e32 v20, 0xbf737871, v45
	;; [unrolled: 1-line block ×4, first 2 shown]
	v_add_f32_e32 v9, v41, v43
	v_add_f32_e32 v41, v21, v49
	;; [unrolled: 1-line block ×4, first 2 shown]
	v_fmac_f32_e32 v44, 0x3e9e377a, v46
	v_fmac_f32_e32 v20, 0x3e9e377a, v46
	v_add_f32_e32 v41, v41, v55
	v_add_f32_e32 v46, v9, v72
	;; [unrolled: 1-line block ×4, first 2 shown]
	v_fma_f32 v41, -0.5, v9, v21
	v_sub_f32_e32 v51, v43, v54
	v_sub_f32_e32 v9, v49, v50
	;; [unrolled: 1-line block ×4, first 2 shown]
	v_add_f32_e32 v9, v9, v43
	v_mov_b32_e32 v43, v41
	v_fmac_f32_e32 v43, 0x3f737871, v48
	v_fmac_f32_e32 v41, 0xbf737871, v48
	;; [unrolled: 1-line block ×6, first 2 shown]
	v_add_f32_e32 v9, v49, v8
	v_fmac_f32_e32 v21, -0.5, v9
	v_mov_b32_e32 v45, v21
	v_sub_f32_e32 v49, v50, v49
	v_sub_f32_e32 v50, v55, v8
	v_fmac_f32_e32 v45, 0xbf737871, v51
	v_fmac_f32_e32 v21, 0x3f737871, v51
	;; [unrolled: 1-line block ×3, first 2 shown]
	v_add_f32_e32 v49, v49, v50
	v_fmac_f32_e32 v21, 0xbf167918, v48
	v_fmac_f32_e32 v45, 0x3e9e377a, v49
	;; [unrolled: 1-line block ×3, first 2 shown]
	s_barrier
	ds_write2_b64 v126, v[32:33], v[30:31] offset1:25
	ds_write2_b64 v126, v[28:29], v[22:23] offset0:50 offset1:75
	ds_write_b64 v126, v[14:15] offset:800
	ds_write2_b64 v127, v[38:39], v[34:35] offset1:25
	ds_write2_b64 v127, v[36:37], v[12:13] offset0:50 offset1:75
	ds_write_b64 v127, v[10:11] offset:800
	;; [unrolled: 3-line block ×3, first 2 shown]
	s_waitcnt lgkmcnt(0)
	s_barrier
	ds_read2_b64 v[10:13], v118 offset1:125
	ds_read2_b64 v[20:23], v125 offset0:122 offset1:247
	ds_read2_b64 v[28:31], v124 offset0:110 offset1:235
	;; [unrolled: 1-line block ×6, first 2 shown]
	ds_read_b64 v[14:15], v118 offset:14000
	s_waitcnt lgkmcnt(6)
	v_mul_f32_e32 v48, v5, v23
	v_fmac_f32_e32 v48, v4, v22
	v_mul_f32_e32 v22, v5, v22
	v_fma_f32 v22, v4, v23, -v22
	s_waitcnt lgkmcnt(5)
	v_mul_f32_e32 v23, v7, v29
	v_fmac_f32_e32 v23, v6, v28
	v_mul_f32_e32 v28, v7, v28
	v_fma_f32 v28, v6, v29, -v28
	;; [unrolled: 5-line block ×4, first 2 shown]
	s_waitcnt lgkmcnt(2)
	v_mul_f32_e32 v37, v5, v41
	v_fmac_f32_e32 v37, v4, v40
	v_mul_f32_e32 v49, v7, v31
	v_mul_f32_e32 v7, v7, v30
	;; [unrolled: 1-line block ×3, first 2 shown]
	s_waitcnt lgkmcnt(1)
	v_mul_f32_e32 v40, v1, v45
	v_mul_f32_e32 v1, v1, v44
	v_fmac_f32_e32 v49, v6, v30
	v_fma_f32 v30, v6, v31, -v7
	v_fma_f32 v31, v4, v41, -v5
	v_fmac_f32_e32 v40, v0, v44
	v_fma_f32 v41, v0, v45, -v1
	v_mul_f32_e32 v44, v3, v39
	v_mul_f32_e32 v0, v3, v38
	v_add_f32_e32 v1, v23, v29
	v_fmac_f32_e32 v44, v2, v38
	v_fma_f32 v38, v2, v39, -v0
	v_fma_f32 v2, -0.5, v1, v10
	v_sub_f32_e32 v1, v22, v36
	v_mov_b32_e32 v4, v2
	v_mul_f32_e32 v39, v17, v43
	v_mul_f32_e32 v0, v17, v42
	v_fmac_f32_e32 v4, 0xbf737871, v1
	v_sub_f32_e32 v3, v28, v34
	v_sub_f32_e32 v5, v48, v23
	;; [unrolled: 1-line block ×3, first 2 shown]
	v_fmac_f32_e32 v2, 0x3f737871, v1
	v_fmac_f32_e32 v39, v16, v42
	v_fma_f32 v42, v16, v43, -v0
	v_mul_f32_e32 v43, v19, v33
	v_mul_f32_e32 v0, v19, v32
	v_fmac_f32_e32 v4, 0xbf167918, v3
	v_add_f32_e32 v5, v5, v6
	v_fmac_f32_e32 v2, 0x3f167918, v3
	v_fmac_f32_e32 v43, v18, v32
	v_fma_f32 v32, v18, v33, -v0
	v_mul_f32_e32 v0, v25, v46
	v_fmac_f32_e32 v4, 0x3e9e377a, v5
	v_fmac_f32_e32 v2, 0x3e9e377a, v5
	v_add_f32_e32 v5, v48, v35
	v_fma_f32 v45, v24, v47, -v0
	s_waitcnt lgkmcnt(0)
	v_mul_f32_e32 v0, v27, v14
	v_fma_f32 v6, -0.5, v5, v10
	v_mul_f32_e32 v33, v25, v47
	v_fma_f32 v47, v26, v15, -v0
	v_add_f32_e32 v0, v10, v48
	v_mov_b32_e32 v10, v6
	v_fmac_f32_e32 v10, 0x3f737871, v3
	v_sub_f32_e32 v5, v23, v48
	v_sub_f32_e32 v7, v29, v35
	v_fmac_f32_e32 v6, 0xbf737871, v3
	v_add_f32_e32 v3, v28, v34
	v_fmac_f32_e32 v33, v24, v46
	v_mul_f32_e32 v46, v27, v15
	v_fmac_f32_e32 v10, 0xbf167918, v1
	v_add_f32_e32 v5, v5, v7
	v_fmac_f32_e32 v6, 0x3f167918, v1
	v_fma_f32 v3, -0.5, v3, v11
	v_fmac_f32_e32 v46, v26, v14
	v_fmac_f32_e32 v10, 0x3e9e377a, v5
	;; [unrolled: 1-line block ×3, first 2 shown]
	v_sub_f32_e32 v14, v48, v35
	v_mov_b32_e32 v5, v3
	v_fmac_f32_e32 v5, 0x3f737871, v14
	v_sub_f32_e32 v15, v23, v29
	v_sub_f32_e32 v7, v22, v28
	;; [unrolled: 1-line block ×3, first 2 shown]
	v_fmac_f32_e32 v3, 0xbf737871, v14
	v_fmac_f32_e32 v5, 0x3f167918, v15
	v_add_f32_e32 v7, v7, v16
	v_fmac_f32_e32 v3, 0xbf167918, v15
	v_fmac_f32_e32 v5, 0x3e9e377a, v7
	;; [unrolled: 1-line block ×3, first 2 shown]
	v_add_f32_e32 v7, v22, v36
	v_fma_f32 v7, -0.5, v7, v11
	v_add_f32_e32 v1, v11, v22
	v_mov_b32_e32 v11, v7
	v_fmac_f32_e32 v11, 0xbf737871, v15
	v_sub_f32_e32 v16, v28, v22
	v_sub_f32_e32 v17, v34, v36
	v_fmac_f32_e32 v7, 0x3f737871, v15
	v_fmac_f32_e32 v11, 0x3f167918, v14
	v_add_f32_e32 v16, v16, v17
	v_fmac_f32_e32 v7, 0xbf167918, v14
	v_add_f32_e32 v15, v49, v40
	v_fmac_f32_e32 v11, 0x3e9e377a, v16
	v_fmac_f32_e32 v7, 0x3e9e377a, v16
	v_fma_f32 v16, -0.5, v15, v12
	v_sub_f32_e32 v15, v31, v38
	v_mov_b32_e32 v18, v16
	v_fmac_f32_e32 v18, 0xbf737871, v15
	v_sub_f32_e32 v17, v30, v41
	v_sub_f32_e32 v19, v37, v49
	;; [unrolled: 1-line block ×3, first 2 shown]
	v_fmac_f32_e32 v16, 0x3f737871, v15
	v_fmac_f32_e32 v18, 0xbf167918, v17
	v_add_f32_e32 v19, v19, v22
	v_fmac_f32_e32 v16, 0x3f167918, v17
	v_fmac_f32_e32 v18, 0x3e9e377a, v19
	;; [unrolled: 1-line block ×3, first 2 shown]
	v_add_f32_e32 v19, v37, v44
	v_add_f32_e32 v14, v12, v37
	v_fma_f32 v12, -0.5, v19, v12
	v_mov_b32_e32 v22, v12
	v_add_f32_e32 v0, v0, v23
	v_fmac_f32_e32 v22, 0x3f737871, v17
	v_sub_f32_e32 v19, v49, v37
	v_sub_f32_e32 v23, v40, v44
	v_fmac_f32_e32 v12, 0xbf737871, v17
	v_add_f32_e32 v17, v30, v41
	v_fmac_f32_e32 v22, 0xbf167918, v15
	v_add_f32_e32 v19, v19, v23
	v_fmac_f32_e32 v12, 0x3f167918, v15
	v_fma_f32 v17, -0.5, v17, v13
	v_fmac_f32_e32 v22, 0x3e9e377a, v19
	v_fmac_f32_e32 v12, 0x3e9e377a, v19
	v_sub_f32_e32 v24, v37, v44
	v_mov_b32_e32 v19, v17
	v_fmac_f32_e32 v19, 0x3f737871, v24
	v_sub_f32_e32 v25, v49, v40
	v_sub_f32_e32 v23, v31, v30
	;; [unrolled: 1-line block ×3, first 2 shown]
	v_fmac_f32_e32 v17, 0xbf737871, v24
	v_fmac_f32_e32 v19, 0x3f167918, v25
	v_add_f32_e32 v23, v23, v26
	v_fmac_f32_e32 v17, 0xbf167918, v25
	v_fmac_f32_e32 v19, 0x3e9e377a, v23
	;; [unrolled: 1-line block ×3, first 2 shown]
	v_add_f32_e32 v23, v31, v38
	v_add_f32_e32 v15, v13, v31
	v_fmac_f32_e32 v13, -0.5, v23
	v_mov_b32_e32 v23, v13
	v_fmac_f32_e32 v23, 0xbf737871, v25
	v_sub_f32_e32 v26, v30, v31
	v_sub_f32_e32 v27, v41, v38
	v_fmac_f32_e32 v13, 0x3f737871, v25
	v_fmac_f32_e32 v23, 0x3f167918, v24
	v_add_f32_e32 v26, v26, v27
	v_fmac_f32_e32 v13, 0xbf167918, v24
	v_add_f32_e32 v25, v43, v33
	v_fmac_f32_e32 v23, 0x3e9e377a, v26
	v_fmac_f32_e32 v13, 0x3e9e377a, v26
	v_fma_f32 v26, -0.5, v25, v20
	v_add_f32_e32 v1, v1, v28
	v_sub_f32_e32 v25, v42, v47
	v_mov_b32_e32 v28, v26
	v_add_f32_e32 v0, v0, v29
	v_add_f32_e32 v15, v15, v30
	v_fmac_f32_e32 v28, 0xbf737871, v25
	v_sub_f32_e32 v27, v32, v45
	v_sub_f32_e32 v29, v39, v43
	;; [unrolled: 1-line block ×3, first 2 shown]
	v_fmac_f32_e32 v26, 0x3f737871, v25
	v_fmac_f32_e32 v28, 0xbf167918, v27
	v_add_f32_e32 v29, v29, v30
	v_fmac_f32_e32 v26, 0x3f167918, v27
	v_fmac_f32_e32 v28, 0x3e9e377a, v29
	;; [unrolled: 1-line block ×3, first 2 shown]
	v_add_f32_e32 v29, v39, v46
	v_add_f32_e32 v24, v20, v39
	v_fma_f32 v20, -0.5, v29, v20
	v_mov_b32_e32 v30, v20
	v_fmac_f32_e32 v30, 0x3f737871, v27
	v_sub_f32_e32 v29, v43, v39
	v_sub_f32_e32 v31, v33, v46
	v_fmac_f32_e32 v20, 0xbf737871, v27
	v_add_f32_e32 v27, v32, v45
	v_fmac_f32_e32 v30, 0xbf167918, v25
	v_add_f32_e32 v29, v29, v31
	v_fmac_f32_e32 v20, 0x3f167918, v25
	v_fma_f32 v27, -0.5, v27, v21
	v_add_f32_e32 v1, v1, v34
	v_add_f32_e32 v24, v24, v43
	v_fmac_f32_e32 v30, 0x3e9e377a, v29
	v_fmac_f32_e32 v20, 0x3e9e377a, v29
	v_sub_f32_e32 v34, v39, v46
	v_mov_b32_e32 v29, v27
	v_add_f32_e32 v0, v0, v35
	v_add_f32_e32 v24, v24, v33
	v_fmac_f32_e32 v29, 0x3f737871, v34
	v_sub_f32_e32 v33, v43, v33
	v_sub_f32_e32 v31, v42, v32
	;; [unrolled: 1-line block ×3, first 2 shown]
	v_fmac_f32_e32 v27, 0xbf737871, v34
	v_fmac_f32_e32 v29, 0x3f167918, v33
	v_add_f32_e32 v31, v31, v35
	v_fmac_f32_e32 v27, 0xbf167918, v33
	v_fmac_f32_e32 v29, 0x3e9e377a, v31
	;; [unrolled: 1-line block ×3, first 2 shown]
	v_add_f32_e32 v31, v42, v47
	v_add_f32_e32 v25, v21, v42
	v_fmac_f32_e32 v21, -0.5, v31
	v_mov_b32_e32 v31, v21
	v_add_f32_e32 v14, v14, v49
	v_add_f32_e32 v25, v25, v32
	v_fmac_f32_e32 v31, 0xbf737871, v33
	v_sub_f32_e32 v32, v32, v42
	v_sub_f32_e32 v35, v45, v47
	v_fmac_f32_e32 v21, 0x3f737871, v33
	v_add_f32_e32 v14, v14, v40
	v_add_f32_e32 v15, v15, v41
	;; [unrolled: 1-line block ×3, first 2 shown]
	v_fmac_f32_e32 v31, 0x3f167918, v34
	v_add_f32_e32 v32, v32, v35
	v_fmac_f32_e32 v21, 0xbf167918, v34
	v_add_f32_e32 v1, v1, v36
	v_add_f32_e32 v14, v14, v44
	;; [unrolled: 1-line block ×5, first 2 shown]
	v_fmac_f32_e32 v31, 0x3e9e377a, v32
	v_fmac_f32_e32 v21, 0x3e9e377a, v32
	s_barrier
	ds_write2_b64 v118, v[0:1], v[4:5] offset1:125
	ds_write2_b64 v125, v[10:11], v[6:7] offset0:122 offset1:247
	ds_write2_b64 v121, v[2:3], v[14:15] offset0:116 offset1:241
	;; [unrolled: 1-line block ×6, first 2 shown]
	ds_write_b64 v135, v[26:27] offset:14000
	s_waitcnt lgkmcnt(0)
	s_barrier
	ds_read2_b64 v[0:3], v118 offset1:125
	ds_read2_b64 v[4:7], v121 offset0:116 offset1:241
	ds_read2_b64 v[10:13], v120 offset0:98 offset1:223
	;; [unrolled: 1-line block ×6, first 2 shown]
	ds_read_b64 v[30:31], v118 offset:14000
	s_waitcnt lgkmcnt(6)
	v_mul_f32_e32 v32, v61, v7
	v_fmac_f32_e32 v32, v60, v6
	v_mul_f32_e32 v6, v61, v6
	v_fma_f32 v33, v60, v7, -v6
	s_waitcnt lgkmcnt(5)
	v_mul_f32_e32 v6, v63, v10
	v_mul_f32_e32 v34, v63, v11
	v_fma_f32 v11, v62, v11, -v6
	s_waitcnt lgkmcnt(4)
	v_mul_f32_e32 v6, v57, v14
	v_mul_f32_e32 v35, v57, v15
	v_fma_f32 v15, v56, v15, -v6
	v_mul_f32_e32 v6, v59, v12
	v_fma_f32 v37, v58, v13, -v6
	;; [unrolled: 2-line block ×3, first 2 shown]
	s_waitcnt lgkmcnt(2)
	v_mul_f32_e32 v6, v67, v22
	v_mul_f32_e32 v40, v67, v23
	v_fma_f32 v23, v66, v23, -v6
	s_waitcnt lgkmcnt(1)
	v_mul_f32_e32 v6, v69, v26
	v_mul_f32_e32 v41, v69, v27
	v_fma_f32 v27, v68, v27, -v6
	v_mul_f32_e32 v6, v71, v24
	v_fmac_f32_e32 v34, v62, v10
	v_fma_f32 v43, v70, v25, -v6
	v_mul_f32_e32 v6, v81, v28
	v_fma_f32 v45, v80, v29, -v6
	s_waitcnt lgkmcnt(0)
	v_mul_f32_e32 v6, v83, v30
	v_add_f32_e32 v7, v32, v34
	v_mul_f32_e32 v46, v83, v31
	v_fma_f32 v31, v82, v31, -v6
	v_add_f32_e32 v6, v0, v32
	v_fma_f32 v0, -0.5, v7, v0
	v_sub_f32_e32 v7, v33, v11
	v_mov_b32_e32 v10, v0
	v_fmac_f32_e32 v10, 0xbf5db3d7, v7
	v_fmac_f32_e32 v0, 0x3f5db3d7, v7
	v_add_f32_e32 v7, v1, v33
	v_mul_f32_e32 v36, v59, v13
	v_add_f32_e32 v7, v7, v11
	v_add_f32_e32 v11, v33, v11
	v_fmac_f32_e32 v35, v56, v14
	v_fmac_f32_e32 v36, v58, v12
	v_fma_f32 v1, -0.5, v11, v1
	v_sub_f32_e32 v12, v32, v34
	v_mov_b32_e32 v11, v1
	v_add_f32_e32 v13, v35, v36
	v_fmac_f32_e32 v11, 0x3f5db3d7, v12
	v_fmac_f32_e32 v1, 0xbf5db3d7, v12
	v_add_f32_e32 v12, v2, v35
	v_fma_f32 v2, -0.5, v13, v2
	v_sub_f32_e32 v13, v15, v37
	v_mov_b32_e32 v14, v2
	v_mul_f32_e32 v38, v65, v17
	v_fmac_f32_e32 v14, 0xbf5db3d7, v13
	v_fmac_f32_e32 v2, 0x3f5db3d7, v13
	v_add_f32_e32 v13, v3, v15
	v_add_f32_e32 v15, v15, v37
	v_fmac_f32_e32 v38, v64, v16
	v_fmac_f32_e32 v40, v66, v22
	v_fmac_f32_e32 v3, -0.5, v15
	v_sub_f32_e32 v16, v35, v36
	v_mov_b32_e32 v15, v3
	v_add_f32_e32 v17, v38, v40
	v_fmac_f32_e32 v15, 0x3f5db3d7, v16
	v_fmac_f32_e32 v3, 0xbf5db3d7, v16
	v_add_f32_e32 v16, v18, v38
	v_fma_f32 v18, -0.5, v17, v18
	v_sub_f32_e32 v17, v39, v23
	v_mov_b32_e32 v22, v18
	v_fmac_f32_e32 v22, 0xbf5db3d7, v17
	v_fmac_f32_e32 v18, 0x3f5db3d7, v17
	v_add_f32_e32 v17, v19, v39
	v_mul_f32_e32 v42, v71, v25
	v_add_f32_e32 v17, v17, v23
	v_add_f32_e32 v23, v39, v23
	v_fmac_f32_e32 v41, v68, v26
	v_fmac_f32_e32 v42, v70, v24
	v_fma_f32 v19, -0.5, v23, v19
	v_sub_f32_e32 v24, v38, v40
	v_mov_b32_e32 v23, v19
	v_add_f32_e32 v25, v41, v42
	v_fmac_f32_e32 v23, 0x3f5db3d7, v24
	v_fmac_f32_e32 v19, 0xbf5db3d7, v24
	v_add_f32_e32 v24, v20, v41
	v_fma_f32 v20, -0.5, v25, v20
	v_sub_f32_e32 v25, v27, v43
	v_mov_b32_e32 v26, v20
	v_mul_f32_e32 v44, v81, v29
	v_fmac_f32_e32 v26, 0xbf5db3d7, v25
	v_fmac_f32_e32 v20, 0x3f5db3d7, v25
	v_add_f32_e32 v25, v21, v27
	v_add_f32_e32 v27, v27, v43
	v_fmac_f32_e32 v44, v80, v28
	v_fmac_f32_e32 v46, v82, v30
	v_fmac_f32_e32 v21, -0.5, v27
	v_sub_f32_e32 v28, v41, v42
	v_mov_b32_e32 v27, v21
	v_add_f32_e32 v29, v44, v46
	v_fmac_f32_e32 v27, 0x3f5db3d7, v28
	v_fmac_f32_e32 v21, 0xbf5db3d7, v28
	v_add_f32_e32 v28, v4, v44
	v_fma_f32 v4, -0.5, v29, v4
	v_sub_f32_e32 v29, v45, v31
	v_mov_b32_e32 v30, v4
	v_fmac_f32_e32 v30, 0xbf5db3d7, v29
	v_fmac_f32_e32 v4, 0x3f5db3d7, v29
	v_add_f32_e32 v29, v5, v45
	v_add_f32_e32 v29, v29, v31
	;; [unrolled: 1-line block ×3, first 2 shown]
	v_fmac_f32_e32 v5, -0.5, v31
	v_mad_u64_u32 v[8:9], s[6:7], s2, v104, 0
	v_sub_f32_e32 v32, v44, v46
	v_mov_b32_e32 v31, v5
	v_add_f32_e32 v6, v6, v34
	v_add_f32_e32 v12, v12, v36
	;; [unrolled: 1-line block ×7, first 2 shown]
	v_fmac_f32_e32 v31, 0x3f5db3d7, v32
	v_fmac_f32_e32 v5, 0xbf5db3d7, v32
	ds_write_b64 v118, v[10:11] offset:5000
	ds_write_b64 v118, v[0:1] offset:10000
	ds_write2_b64 v118, v[6:7], v[12:13] offset1:125
	ds_write2_b64 v124, v[14:15], v[22:23] offset0:110 offset1:235
	ds_write2_b64 v140, v[2:3], v[18:19] offset0:95 offset1:220
	;; [unrolled: 1-line block ×3, first 2 shown]
	ds_write_b64 v118, v[20:21] offset:13000
	ds_write_b64 v118, v[28:29] offset:4000
	ds_write2_b64 v123, v[26:27], v[30:31] offset0:104 offset1:229
	ds_write_b64 v118, v[4:5] offset:14000
	s_waitcnt lgkmcnt(0)
	s_barrier
	ds_read2_b64 v[0:3], v118 offset1:125
	v_mov_b32_e32 v4, v9
	v_mad_u64_u32 v[4:5], s[2:3], s3, v104, v[4:5]
	s_mov_b32 s2, 0x9cbd821e
	s_waitcnt lgkmcnt(0)
	v_mul_f32_e32 v5, v114, v1
	v_fmac_f32_e32 v5, v113, v0
	v_cvt_f64_f32_e32 v[5:6], v5
	s_mov_b32 s3, 0x3f4179ec
	v_mul_f32_e32 v0, v114, v0
	v_fma_f32 v0, v113, v1, -v0
	v_mul_f64 v[5:6], v[5:6], s[2:3]
	v_cvt_f64_f32_e32 v[0:1], v0
	v_mad_u64_u32 v[10:11], s[6:7], s0, v119, 0
	v_mov_b32_e32 v9, v4
	v_mul_f64 v[0:1], v[0:1], s[2:3]
	v_mov_b32_e32 v4, v11
	v_mov_b32_e32 v14, s5
	v_mad_u64_u32 v[11:12], s[6:7], s1, v119, v[4:5]
	v_cvt_f32_f64_e32 v12, v[5:6]
	ds_read2_b64 v[4:7], v125 offset0:122 offset1:247
	s_mul_hi_u32 s5, s0, 0xbb8
	v_cvt_f32_f64_e32 v13, v[0:1]
	v_lshlrev_b64 v[0:1], 3, v[8:9]
	s_waitcnt lgkmcnt(0)
	v_mul_f32_e32 v8, v112, v7
	v_fmac_f32_e32 v8, v111, v6
	v_mul_f32_e32 v6, v112, v6
	v_fma_f32 v6, v111, v7, -v6
	v_cvt_f64_f32_e32 v[8:9], v8
	v_cvt_f64_f32_e32 v[6:7], v6
	v_add_co_u32_e32 v15, vcc, s4, v0
	v_addc_co_u32_e32 v16, vcc, v14, v1, vcc
	v_mul_f64 v[0:1], v[8:9], s[2:3]
	v_lshlrev_b64 v[8:9], 3, v[10:11]
	v_mul_f64 v[10:11], v[6:7], s[2:3]
	v_add_co_u32_e32 v14, vcc, v15, v8
	v_addc_co_u32_e32 v15, vcc, v16, v9, vcc
	ds_read2_b64 v[6:9], v124 offset0:110 offset1:235
	v_cvt_f32_f64_e32 v0, v[0:1]
	s_mul_i32 s4, s1, 0xbb8
	v_cvt_f32_f64_e32 v1, v[10:11]
	s_add_i32 s4, s5, s4
	s_waitcnt lgkmcnt(0)
	v_mul_f32_e32 v10, v110, v7
	v_fmac_f32_e32 v10, v109, v6
	v_mul_f32_e32 v6, v110, v6
	v_fma_f32 v6, v109, v7, -v6
	v_cvt_f64_f32_e32 v[6:7], v6
	v_cvt_f64_f32_e32 v[10:11], v10
	s_mul_i32 s5, s0, 0xbb8
	global_store_dwordx2 v[14:15], v[12:13], off
	v_mul_f64 v[6:7], v[6:7], s[2:3]
	v_mov_b32_e32 v12, s4
	v_add_co_u32_e32 v18, vcc, s5, v14
	v_mul_f64 v[16:17], v[10:11], s[2:3]
	v_addc_co_u32_e32 v19, vcc, v15, v12, vcc
	ds_read2_b64 v[10:13], v123 offset0:104 offset1:229
	global_store_dwordx2 v[18:19], v[0:1], off
	v_cvt_f32_f64_e32 v1, v[6:7]
	v_mov_b32_e32 v20, s4
	v_add_co_u32_e32 v18, vcc, s5, v18
	s_waitcnt lgkmcnt(0)
	v_mul_f32_e32 v6, v106, v13
	v_fmac_f32_e32 v6, v105, v12
	v_mul_f32_e32 v12, v106, v12
	v_fma_f32 v12, v105, v13, -v12
	v_cvt_f32_f64_e32 v0, v[16:17]
	v_cvt_f64_f32_e32 v[6:7], v6
	v_cvt_f64_f32_e32 v[16:17], v12
	ds_read2_b64 v[12:15], v122 offset0:92 offset1:217
	v_addc_co_u32_e32 v19, vcc, v19, v20, vcc
	global_store_dwordx2 v[18:19], v[0:1], off
	v_mul_f64 v[0:1], v[6:7], s[2:3]
	v_mul_f64 v[6:7], v[16:17], s[2:3]
	s_waitcnt lgkmcnt(0)
	v_mul_f32_e32 v16, v108, v13
	v_fmac_f32_e32 v16, v107, v12
	v_mul_f32_e32 v12, v108, v12
	v_fma_f32 v12, v107, v13, -v12
	v_cvt_f64_f32_e32 v[16:17], v16
	v_cvt_f64_f32_e32 v[12:13], v12
	v_cvt_f32_f64_e32 v0, v[0:1]
	v_cvt_f32_f64_e32 v1, v[6:7]
	v_mul_f64 v[6:7], v[16:17], s[2:3]
	v_mul_f64 v[12:13], v[12:13], s[2:3]
	v_mov_b32_e32 v17, s4
	v_add_co_u32_e32 v16, vcc, s5, v18
	v_addc_co_u32_e32 v17, vcc, v19, v17, vcc
	global_store_dwordx2 v[16:17], v[0:1], off
	v_mul_f32_e32 v0, v103, v3
	v_fmac_f32_e32 v0, v102, v2
	v_cvt_f32_f64_e32 v6, v[6:7]
	v_cvt_f32_f64_e32 v7, v[12:13]
	v_cvt_f64_f32_e32 v[12:13], v0
	v_mul_f32_e32 v0, v103, v2
	v_fma_f32 v0, v102, v3, -v0
	v_cvt_f64_f32_e32 v[18:19], v0
	ds_read2_b64 v[0:3], v121 offset0:116 offset1:241
	v_add_co_u32_e32 v16, vcc, s5, v16
	v_mul_f64 v[12:13], v[12:13], s[2:3]
	v_addc_co_u32_e32 v17, vcc, v17, v20, vcc
	s_waitcnt lgkmcnt(0)
	v_mul_f32_e32 v20, v101, v1
	v_fmac_f32_e32 v20, v100, v0
	v_mul_f32_e32 v0, v101, v0
	v_fma_f32 v0, v100, v1, -v0
	v_mul_f64 v[18:19], v[18:19], s[2:3]
	v_cvt_f64_f32_e32 v[20:21], v20
	v_cvt_f64_f32_e32 v[0:1], v0
	global_store_dwordx2 v[16:17], v[6:7], off
	v_cvt_f32_f64_e32 v6, v[12:13]
	v_mul_f64 v[12:13], v[20:21], s[2:3]
	v_mul_f64 v[0:1], v[0:1], s[2:3]
	v_mad_u64_u32 v[16:17], s[6:7], s0, v117, v[16:17]
	v_cvt_f32_f64_e32 v7, v[18:19]
	s_mulk_i32 s1, 0xd508
	s_sub_i32 s6, s1, s0
	v_add_u32_e32 v17, s6, v17
	global_store_dwordx2 v[16:17], v[6:7], off
	v_cvt_f32_f64_e32 v12, v[12:13]
	v_cvt_f32_f64_e32 v13, v[0:1]
	v_mul_f32_e32 v0, v99, v9
	v_mul_f32_e32 v6, v99, v8
	v_fmac_f32_e32 v0, v98, v8
	v_fma_f32 v6, v98, v9, -v6
	v_cvt_f64_f32_e32 v[0:1], v0
	v_cvt_f64_f32_e32 v[18:19], v6
	ds_read2_b64 v[6:9], v120 offset0:98 offset1:223
	v_mov_b32_e32 v20, s4
	v_add_co_u32_e32 v16, vcc, s5, v16
	v_addc_co_u32_e32 v17, vcc, v17, v20, vcc
	global_store_dwordx2 v[16:17], v[12:13], off
	v_mul_f64 v[0:1], v[0:1], s[2:3]
	v_mul_f64 v[12:13], v[18:19], s[2:3]
	s_waitcnt lgkmcnt(0)
	v_mul_f32_e32 v18, v95, v7
	v_fmac_f32_e32 v18, v94, v6
	v_mul_f32_e32 v6, v95, v6
	v_fma_f32 v6, v94, v7, -v6
	v_cvt_f64_f32_e32 v[18:19], v18
	v_cvt_f64_f32_e32 v[6:7], v6
	v_cvt_f32_f64_e32 v0, v[0:1]
	v_cvt_f32_f64_e32 v1, v[12:13]
	v_mul_f64 v[12:13], v[18:19], s[2:3]
	v_mul_f64 v[6:7], v[6:7], s[2:3]
	v_mov_b32_e32 v18, s4
	v_add_co_u32_e32 v16, vcc, s5, v16
	v_addc_co_u32_e32 v17, vcc, v17, v18, vcc
	global_store_dwordx2 v[16:17], v[0:1], off
	v_cvt_f32_f64_e32 v0, v[12:13]
	v_cvt_f32_f64_e32 v1, v[6:7]
	v_mul_f32_e32 v6, v97, v15
	v_mul_f32_e32 v12, v97, v14
	v_fmac_f32_e32 v6, v96, v14
	v_fma_f32 v12, v96, v15, -v12
	v_cvt_f64_f32_e32 v[6:7], v6
	v_cvt_f64_f32_e32 v[12:13], v12
	v_add_co_u32_e32 v14, vcc, s5, v16
	v_addc_co_u32_e32 v15, vcc, v17, v18, vcc
	global_store_dwordx2 v[14:15], v[0:1], off
	v_mul_f64 v[0:1], v[6:7], s[2:3]
	v_mul_f64 v[6:7], v[12:13], s[2:3]
	v_mul_f32_e32 v12, v91, v5
	v_fmac_f32_e32 v12, v90, v4
	v_cvt_f64_f32_e32 v[12:13], v12
	v_mul_f32_e32 v4, v91, v4
	v_fma_f32 v4, v90, v5, -v4
	v_cvt_f64_f32_e32 v[4:5], v4
	v_cvt_f32_f64_e32 v0, v[0:1]
	v_cvt_f32_f64_e32 v1, v[6:7]
	v_mul_f64 v[6:7], v[12:13], s[2:3]
	v_mul_f64 v[4:5], v[4:5], s[2:3]
	v_mov_b32_e32 v13, s4
	v_add_co_u32_e32 v12, vcc, s5, v14
	v_addc_co_u32_e32 v13, vcc, v15, v13, vcc
	global_store_dwordx2 v[12:13], v[0:1], off
	v_cvt_f32_f64_e32 v0, v[6:7]
	v_mul_f32_e32 v6, v93, v3
	v_fmac_f32_e32 v6, v92, v2
	v_mul_f32_e32 v2, v93, v2
	v_cvt_f32_f64_e32 v1, v[4:5]
	v_mad_u64_u32 v[4:5], s[0:1], s0, v117, v[12:13]
	v_fma_f32 v2, v92, v3, -v2
	v_cvt_f64_f32_e32 v[6:7], v6
	v_cvt_f64_f32_e32 v[2:3], v2
	v_add_u32_e32 v5, s6, v5
	global_store_dwordx2 v[4:5], v[0:1], off
	v_mul_f64 v[0:1], v[6:7], s[2:3]
	v_mul_f64 v[2:3], v[2:3], s[2:3]
	v_mul_f32_e32 v6, v89, v11
	v_fmac_f32_e32 v6, v88, v10
	v_mul_f32_e32 v10, v89, v10
	v_fma_f32 v10, v88, v11, -v10
	v_cvt_f64_f32_e32 v[6:7], v6
	v_cvt_f64_f32_e32 v[10:11], v10
	v_cvt_f32_f64_e32 v0, v[0:1]
	v_cvt_f32_f64_e32 v1, v[2:3]
	v_mul_f64 v[2:3], v[6:7], s[2:3]
	v_mul_f64 v[6:7], v[10:11], s[2:3]
	v_mov_b32_e32 v10, s4
	v_add_co_u32_e32 v4, vcc, s5, v4
	v_addc_co_u32_e32 v5, vcc, v5, v10, vcc
	global_store_dwordx2 v[4:5], v[0:1], off
	v_cvt_f32_f64_e32 v0, v[2:3]
	v_cvt_f32_f64_e32 v1, v[6:7]
	v_mul_f32_e32 v2, v87, v9
	v_mul_f32_e32 v6, v87, v8
	v_fmac_f32_e32 v2, v86, v8
	v_fma_f32 v6, v86, v9, -v6
	v_cvt_f64_f32_e32 v[2:3], v2
	v_cvt_f64_f32_e32 v[6:7], v6
	ds_read_b64 v[8:9], v118 offset:14000
	v_add_co_u32_e32 v4, vcc, s5, v4
	v_addc_co_u32_e32 v5, vcc, v5, v10, vcc
	global_store_dwordx2 v[4:5], v[0:1], off
	v_mul_f64 v[0:1], v[2:3], s[2:3]
	v_mul_f64 v[2:3], v[6:7], s[2:3]
	s_waitcnt lgkmcnt(0)
	v_mul_f32_e32 v6, v85, v9
	v_fmac_f32_e32 v6, v84, v8
	v_mul_f32_e32 v8, v85, v8
	v_fma_f32 v8, v84, v9, -v8
	v_cvt_f64_f32_e32 v[6:7], v6
	v_cvt_f64_f32_e32 v[8:9], v8
	v_cvt_f32_f64_e32 v0, v[0:1]
	v_cvt_f32_f64_e32 v1, v[2:3]
	v_mul_f64 v[2:3], v[6:7], s[2:3]
	v_mul_f64 v[6:7], v[8:9], s[2:3]
	v_mov_b32_e32 v8, s4
	v_add_co_u32_e32 v4, vcc, s5, v4
	v_addc_co_u32_e32 v5, vcc, v5, v8, vcc
	global_store_dwordx2 v[4:5], v[0:1], off
	v_cvt_f32_f64_e32 v0, v[2:3]
	v_cvt_f32_f64_e32 v1, v[6:7]
	v_mov_b32_e32 v3, s4
	v_add_co_u32_e32 v2, vcc, s5, v4
	v_addc_co_u32_e32 v3, vcc, v5, v3, vcc
	global_store_dwordx2 v[2:3], v[0:1], off
.LBB0_2:
	s_endpgm
	.section	.rodata,"a",@progbits
	.p2align	6, 0x0
	.amdhsa_kernel bluestein_single_back_len1875_dim1_sp_op_CI_CI
		.amdhsa_group_segment_fixed_size 30000
		.amdhsa_private_segment_fixed_size 0
		.amdhsa_kernarg_size 104
		.amdhsa_user_sgpr_count 6
		.amdhsa_user_sgpr_private_segment_buffer 1
		.amdhsa_user_sgpr_dispatch_ptr 0
		.amdhsa_user_sgpr_queue_ptr 0
		.amdhsa_user_sgpr_kernarg_segment_ptr 1
		.amdhsa_user_sgpr_dispatch_id 0
		.amdhsa_user_sgpr_flat_scratch_init 0
		.amdhsa_user_sgpr_private_segment_size 0
		.amdhsa_uses_dynamic_stack 0
		.amdhsa_system_sgpr_private_segment_wavefront_offset 0
		.amdhsa_system_sgpr_workgroup_id_x 1
		.amdhsa_system_sgpr_workgroup_id_y 0
		.amdhsa_system_sgpr_workgroup_id_z 0
		.amdhsa_system_sgpr_workgroup_info 0
		.amdhsa_system_vgpr_workitem_id 0
		.amdhsa_next_free_vgpr 179
		.amdhsa_next_free_sgpr 20
		.amdhsa_reserve_vcc 1
		.amdhsa_reserve_flat_scratch 0
		.amdhsa_float_round_mode_32 0
		.amdhsa_float_round_mode_16_64 0
		.amdhsa_float_denorm_mode_32 3
		.amdhsa_float_denorm_mode_16_64 3
		.amdhsa_dx10_clamp 1
		.amdhsa_ieee_mode 1
		.amdhsa_fp16_overflow 0
		.amdhsa_exception_fp_ieee_invalid_op 0
		.amdhsa_exception_fp_denorm_src 0
		.amdhsa_exception_fp_ieee_div_zero 0
		.amdhsa_exception_fp_ieee_overflow 0
		.amdhsa_exception_fp_ieee_underflow 0
		.amdhsa_exception_fp_ieee_inexact 0
		.amdhsa_exception_int_div_zero 0
	.end_amdhsa_kernel
	.text
.Lfunc_end0:
	.size	bluestein_single_back_len1875_dim1_sp_op_CI_CI, .Lfunc_end0-bluestein_single_back_len1875_dim1_sp_op_CI_CI
                                        ; -- End function
	.section	.AMDGPU.csdata,"",@progbits
; Kernel info:
; codeLenInByte = 16744
; NumSgprs: 24
; NumVgprs: 179
; ScratchSize: 0
; MemoryBound: 0
; FloatMode: 240
; IeeeMode: 1
; LDSByteSize: 30000 bytes/workgroup (compile time only)
; SGPRBlocks: 2
; VGPRBlocks: 44
; NumSGPRsForWavesPerEU: 24
; NumVGPRsForWavesPerEU: 179
; Occupancy: 1
; WaveLimiterHint : 1
; COMPUTE_PGM_RSRC2:SCRATCH_EN: 0
; COMPUTE_PGM_RSRC2:USER_SGPR: 6
; COMPUTE_PGM_RSRC2:TRAP_HANDLER: 0
; COMPUTE_PGM_RSRC2:TGID_X_EN: 1
; COMPUTE_PGM_RSRC2:TGID_Y_EN: 0
; COMPUTE_PGM_RSRC2:TGID_Z_EN: 0
; COMPUTE_PGM_RSRC2:TIDIG_COMP_CNT: 0
	.type	__hip_cuid_d21768a37127bf55,@object ; @__hip_cuid_d21768a37127bf55
	.section	.bss,"aw",@nobits
	.globl	__hip_cuid_d21768a37127bf55
__hip_cuid_d21768a37127bf55:
	.byte	0                               ; 0x0
	.size	__hip_cuid_d21768a37127bf55, 1

	.ident	"AMD clang version 19.0.0git (https://github.com/RadeonOpenCompute/llvm-project roc-6.4.0 25133 c7fe45cf4b819c5991fe208aaa96edf142730f1d)"
	.section	".note.GNU-stack","",@progbits
	.addrsig
	.addrsig_sym __hip_cuid_d21768a37127bf55
	.amdgpu_metadata
---
amdhsa.kernels:
  - .args:
      - .actual_access:  read_only
        .address_space:  global
        .offset:         0
        .size:           8
        .value_kind:     global_buffer
      - .actual_access:  read_only
        .address_space:  global
        .offset:         8
        .size:           8
        .value_kind:     global_buffer
      - .actual_access:  read_only
        .address_space:  global
        .offset:         16
        .size:           8
        .value_kind:     global_buffer
      - .actual_access:  read_only
        .address_space:  global
        .offset:         24
        .size:           8
        .value_kind:     global_buffer
      - .actual_access:  read_only
        .address_space:  global
        .offset:         32
        .size:           8
        .value_kind:     global_buffer
      - .offset:         40
        .size:           8
        .value_kind:     by_value
      - .address_space:  global
        .offset:         48
        .size:           8
        .value_kind:     global_buffer
      - .address_space:  global
        .offset:         56
        .size:           8
        .value_kind:     global_buffer
      - .address_space:  global
        .offset:         64
        .size:           8
        .value_kind:     global_buffer
      - .address_space:  global
        .offset:         72
        .size:           8
        .value_kind:     global_buffer
      - .offset:         80
        .size:           4
        .value_kind:     by_value
      - .address_space:  global
        .offset:         88
        .size:           8
        .value_kind:     global_buffer
      - .address_space:  global
        .offset:         96
        .size:           8
        .value_kind:     global_buffer
    .group_segment_fixed_size: 30000
    .kernarg_segment_align: 8
    .kernarg_segment_size: 104
    .language:       OpenCL C
    .language_version:
      - 2
      - 0
    .max_flat_workgroup_size: 250
    .name:           bluestein_single_back_len1875_dim1_sp_op_CI_CI
    .private_segment_fixed_size: 0
    .sgpr_count:     24
    .sgpr_spill_count: 0
    .symbol:         bluestein_single_back_len1875_dim1_sp_op_CI_CI.kd
    .uniform_work_group_size: 1
    .uses_dynamic_stack: false
    .vgpr_count:     179
    .vgpr_spill_count: 0
    .wavefront_size: 64
amdhsa.target:   amdgcn-amd-amdhsa--gfx906
amdhsa.version:
  - 1
  - 2
...

	.end_amdgpu_metadata
